;; amdgpu-corpus repo=ROCm/rocFFT kind=compiled arch=gfx1030 opt=O3
	.text
	.amdgcn_target "amdgcn-amd-amdhsa--gfx1030"
	.amdhsa_code_object_version 6
	.protected	bluestein_single_fwd_len3375_dim1_half_op_CI_CI ; -- Begin function bluestein_single_fwd_len3375_dim1_half_op_CI_CI
	.globl	bluestein_single_fwd_len3375_dim1_half_op_CI_CI
	.p2align	8
	.type	bluestein_single_fwd_len3375_dim1_half_op_CI_CI,@function
bluestein_single_fwd_len3375_dim1_half_op_CI_CI: ; @bluestein_single_fwd_len3375_dim1_half_op_CI_CI
; %bb.0:
	s_load_dwordx4 s[16:19], s[4:5], 0x28
	v_mul_u32_u24_e32 v1, 0x124, v0
	v_mov_b32_e32 v25, 0
	s_mov_b32 s0, exec_lo
	v_lshrrev_b32_e32 v1, 16, v1
	v_add_nc_u32_e32 v24, s6, v1
	s_waitcnt lgkmcnt(0)
	v_cmpx_gt_u64_e64 s[16:17], v[24:25]
	s_cbranch_execz .LBB0_2
; %bb.1:
	s_clause 0x1
	s_load_dwordx4 s[8:11], s[4:5], 0x18
	s_load_dwordx4 s[0:3], s[4:5], 0x0
	v_mul_lo_u16 v1, 0xe1, v1
	v_mov_b32_e32 v50, 2
	v_sub_nc_u16 v49, v0, v1
	v_and_b32_e32 v82, 0xffff, v49
	v_and_b32_e32 v27, 0xff, v49
	v_lshlrev_b32_e32 v69, 2, v82
	v_add_co_u32 v51, null, 0x1c2, v82
	s_waitcnt lgkmcnt(0)
	s_load_dwordx4 s[12:15], s[8:9], 0x0
	s_clause 0x1
	global_load_dword v85, v69, s[0:1]
	global_load_dword v79, v69, s[0:1] offset:900
	v_add_co_u32 v57, s6, s0, v69
	v_add_co_ci_u32_e64 v58, null, s1, 0, s6
	v_add_nc_u32_e32 v91, 0x700, v69
	v_add_co_u32 v7, vcc_lo, 0x800, v57
	v_add_co_ci_u32_e32 v8, vcc_lo, 0, v58, vcc_lo
	v_add_co_u32 v9, vcc_lo, 0x1000, v57
	v_add_co_ci_u32_e32 v10, vcc_lo, 0, v58, vcc_lo
	v_add_nc_u32_e32 v89, 0x1c00, v69
	v_add_nc_u32_e32 v87, 0xe00, v69
	;; [unrolled: 1-line block ×4, first 2 shown]
	s_waitcnt lgkmcnt(0)
	v_mad_u64_u32 v[0:1], null, s14, v24, 0
	v_mad_u64_u32 v[2:3], null, s12, v82, 0
	s_mul_i32 s7, s13, 0xa8c
	s_mul_hi_u32 s8, s12, 0xa8c
	s_mul_i32 s6, s12, 0xa8c
	s_add_i32 s7, s8, s7
	s_mul_i32 s8, s13, 0xffffd954
	v_add_nc_u32_e32 v86, 0x2300, v69
	v_mad_u64_u32 v[4:5], null, s15, v24, v[1:2]
	s_sub_i32 s8, s8, s12
	v_add_nc_u32_e32 v63, 0x2d80, v69
	v_add_nc_u32_e32 v88, 0x2a00, v69
	v_mad_u64_u32 v[5:6], null, s13, v82, v[3:4]
	v_mov_b32_e32 v1, v4
	v_lshlrev_b64 v[0:1], 2, v[0:1]
	v_mov_b32_e32 v3, v5
	v_add_co_u32 v0, vcc_lo, s18, v0
	v_lshlrev_b64 v[2:3], 2, v[2:3]
	v_add_co_ci_u32_e32 v1, vcc_lo, s19, v1, vcc_lo
	v_add_co_u32 v0, vcc_lo, v0, v2
	v_add_co_ci_u32_e32 v1, vcc_lo, v1, v3, vcc_lo
	v_add_co_u32 v3, vcc_lo, v0, s6
	;; [unrolled: 2-line block ×4, first 2 shown]
	v_add_co_ci_u32_e32 v6, vcc_lo, s7, v4, vcc_lo
	global_load_dword v2, v[0:1], off
	v_add_co_u32 v13, vcc_lo, v5, s6
	v_add_co_ci_u32_e32 v14, vcc_lo, s7, v6, vcc_lo
	global_load_dword v1, v[3:4], off
	v_add_co_u32 v15, vcc_lo, v13, s6
	v_add_co_ci_u32_e32 v16, vcc_lo, s7, v14, vcc_lo
	s_clause 0x1
	global_load_dword v84, v[7:8], off offset:652
	global_load_dword v83, v[9:10], off offset:1304
	global_load_dword v0, v[5:6], off
	v_add_co_u32 v19, vcc_lo, 0x2800, v57
	v_mad_u64_u32 v[17:18], null, 0xffffd954, s12, v[15:16]
	v_add_co_ci_u32_e32 v20, vcc_lo, 0, v58, vcc_lo
	global_load_dword v4, v[13:14], off
	global_load_dword v81, v[11:12], off offset:1956
	global_load_dword v6, v[15:16], off
	s_clause 0x1
	global_load_dword v78, v[7:8], off offset:1552
	global_load_dword v80, v[19:20], off offset:560
	v_add_nc_u32_e32 v18, s8, v18
	v_add_co_u32 v13, vcc_lo, v17, s6
	v_add_co_ci_u32_e32 v14, vcc_lo, s7, v18, vcc_lo
	v_add_co_u32 v15, vcc_lo, v13, s6
	global_load_dword v7, v[17:18], off
	v_add_co_ci_u32_e32 v16, vcc_lo, s7, v14, vcc_lo
	v_add_co_u32 v17, vcc_lo, v15, s6
	global_load_dword v5, v[13:14], off
	;; [unrolled: 3-line block ×3, first 2 shown]
	global_load_dword v77, v[11:12], off offset:156
	v_add_co_ci_u32_e32 v14, vcc_lo, s7, v18, vcc_lo
	v_add_co_u32 v21, vcc_lo, 0x2000, v57
	v_add_co_ci_u32_e32 v22, vcc_lo, 0, v58, vcc_lo
	v_mad_u64_u32 v[15:16], null, 0xffffd954, s12, v[13:14]
	s_clause 0x1
	global_load_dword v74, v69, s[0:1] offset:1800
	global_load_dword v76, v[21:22], off offset:808
	global_load_dword v8, v[17:18], off
	s_clause 0x1
	global_load_dword v75, v[19:20], off offset:1460
	global_load_dword v73, v[9:10], off offset:404
	global_load_dword v10, v[13:14], off
	global_load_dword v72, v[11:12], off offset:1056
	v_add_co_u32 v52, s0, 0xe1, v82
	v_mul_u32_u24_e32 v19, 5, v51
	v_add_co_ci_u32_e64 v28, null, 0, 0, s0
	v_add_nc_u32_e32 v16, s8, v16
	v_add_co_u32 v11, vcc_lo, v15, s6
	v_mul_u32_u24_e32 v18, 5, v52
	v_lshlrev_b32_e32 v61, 2, v19
	v_add_co_ci_u32_e32 v12, vcc_lo, s7, v16, vcc_lo
	global_load_dword v14, v[15:16], off
	v_add_co_u32 v15, vcc_lo, v11, s6
	v_add_co_ci_u32_e32 v16, vcc_lo, s7, v12, vcc_lo
	global_load_dword v13, v[11:12], off
	v_add_co_u32 v11, vcc_lo, v15, s6
	;; [unrolled: 3-line block ×3, first 2 shown]
	v_add_co_ci_u32_e32 v16, vcc_lo, s7, v12, vcc_lo
	v_add_co_u32 v25, vcc_lo, 0x3000, v57
	global_load_dword v11, v[11:12], off
	v_add_co_ci_u32_e32 v26, vcc_lo, 0, v58, vcc_lo
	global_load_dword v12, v[15:16], off
	s_clause 0x1
	global_load_dword v71, v[21:22], off offset:1708
	global_load_dword v70, v[25:26], off offset:312
	v_mov_b32_e32 v15, 0xcccd
	v_mul_lo_u16 v16, v49, 5
	s_load_dwordx4 s[8:11], s[10:11], 0x0
	v_lshlrev_b32_e32 v60, 2, v18
	v_cmp_gt_u16_e32 vcc_lo, 0x7d, v49
	v_mul_u32_u24_sdwa v17, v51, v15 dst_sel:DWORD dst_unused:UNUSED_PAD src0_sel:WORD_0 src1_sel:DWORD
	v_lshlrev_b32_sdwa v59, v50, v16 dst_sel:DWORD dst_unused:UNUSED_PAD src0_sel:DWORD src1_sel:WORD_0
	v_mul_lo_u16 v16, 0xcd, v27
	v_mul_u32_u24_sdwa v15, v52, v15 dst_sel:DWORD dst_unused:UNUSED_PAD src0_sel:WORD_0 src1_sel:DWORD
	v_lshrrev_b32_e32 v30, 18, v17
	v_lshrrev_b16 v29, 10, v16
	v_mul_lo_u16 v23, v30, 5
	v_sub_nc_u16 v32, v51, v23
	s_waitcnt vmcnt(27)
	v_lshrrev_b32_e32 v20, 16, v2
	v_mul_f16_sdwa v16, v85, v2 dst_sel:DWORD dst_unused:UNUSED_PAD src0_sel:WORD_1 src1_sel:DWORD
	v_mul_f16_sdwa v17, v85, v20 dst_sel:DWORD dst_unused:UNUSED_PAD src0_sel:WORD_1 src1_sel:DWORD
	s_waitcnt vmcnt(26)
	v_lshrrev_b32_e32 v21, 16, v1
	v_fma_f16 v16, v85, v20, -v16
	s_waitcnt vmcnt(25)
	v_mul_f16_sdwa v22, v84, v1 dst_sel:DWORD dst_unused:UNUSED_PAD src0_sel:WORD_1 src1_sel:DWORD
	v_fmac_f16_e32 v17, v85, v2
	v_mul_f16_sdwa v2, v84, v21 dst_sel:DWORD dst_unused:UNUSED_PAD src0_sel:WORD_1 src1_sel:DWORD
	v_fma_f16 v20, v84, v21, -v22
	s_waitcnt vmcnt(23)
	v_lshrrev_b32_e32 v21, 16, v0
	v_mul_f16_sdwa v22, v83, v0 dst_sel:DWORD dst_unused:UNUSED_PAD src0_sel:WORD_1 src1_sel:DWORD
	v_fmac_f16_e32 v2, v84, v1
	s_waitcnt vmcnt(22)
	v_lshrrev_b32_e32 v1, 16, v4
	v_pack_b32_f16 v16, v17, v16
	v_mul_f16_sdwa v17, v83, v21 dst_sel:DWORD dst_unused:UNUSED_PAD src0_sel:WORD_1 src1_sel:DWORD
	v_fma_f16 v21, v83, v21, -v22
	s_waitcnt vmcnt(21)
	v_mul_f16_sdwa v22, v81, v4 dst_sel:DWORD dst_unused:UNUSED_PAD src0_sel:WORD_1 src1_sel:DWORD
	v_pack_b32_f16 v2, v2, v20
	v_mul_f16_sdwa v20, v81, v1 dst_sel:DWORD dst_unused:UNUSED_PAD src0_sel:WORD_1 src1_sel:DWORD
	s_waitcnt vmcnt(20)
	v_lshrrev_b32_e32 v31, 16, v6
	v_fmac_f16_e32 v17, v83, v0
	v_fma_f16 v0, v81, v1, -v22
	s_waitcnt vmcnt(18)
	v_mul_f16_sdwa v1, v80, v6 dst_sel:DWORD dst_unused:UNUSED_PAD src0_sel:WORD_1 src1_sel:DWORD
	v_fmac_f16_e32 v20, v81, v4
	v_mul_f16_sdwa v4, v80, v31 dst_sel:DWORD dst_unused:UNUSED_PAD src0_sel:WORD_1 src1_sel:DWORD
	ds_write_b32 v69, v2 offset:2700
	v_pack_b32_f16 v2, v17, v21
	v_fma_f16 v1, v80, v31, -v1
	v_pack_b32_f16 v0, v20, v0
	v_fmac_f16_e32 v4, v80, v6
	s_waitcnt vmcnt(17)
	v_lshrrev_b32_e32 v6, 16, v7
	ds_write_b32 v69, v2 offset:5400
	v_mul_f16_sdwa v2, v79, v7 dst_sel:DWORD dst_unused:UNUSED_PAD src0_sel:WORD_1 src1_sel:DWORD
	ds_write_b32 v69, v0 offset:8100
	v_pack_b32_f16 v0, v4, v1
	v_mul_f16_sdwa v1, v79, v6 dst_sel:DWORD dst_unused:UNUSED_PAD src0_sel:WORD_1 src1_sel:DWORD
	s_waitcnt vmcnt(16)
	v_lshrrev_b32_e32 v4, 16, v5
	v_fma_f16 v2, v79, v6, -v2
	v_mul_f16_sdwa v6, v78, v5 dst_sel:DWORD dst_unused:UNUSED_PAD src0_sel:WORD_1 src1_sel:DWORD
	ds_write_b32 v69, v0 offset:10800
	v_fmac_f16_e32 v1, v79, v7
	v_mul_f16_sdwa v0, v78, v4 dst_sel:DWORD dst_unused:UNUSED_PAD src0_sel:WORD_1 src1_sel:DWORD
	s_waitcnt vmcnt(15)
	v_lshrrev_b32_e32 v7, 16, v3
	s_waitcnt vmcnt(14)
	v_mul_f16_sdwa v17, v77, v3 dst_sel:DWORD dst_unused:UNUSED_PAD src0_sel:WORD_1 src1_sel:DWORD
	v_fma_f16 v4, v78, v4, -v6
	v_pack_b32_f16 v1, v1, v2
	v_fmac_f16_e32 v0, v78, v5
	s_waitcnt vmcnt(11)
	v_lshrrev_b32_e32 v6, 16, v8
	v_mul_f16_sdwa v2, v77, v7 dst_sel:DWORD dst_unused:UNUSED_PAD src0_sel:WORD_1 src1_sel:DWORD
	v_fma_f16 v5, v77, v7, -v17
	v_mul_f16_sdwa v7, v76, v8 dst_sel:DWORD dst_unused:UNUSED_PAD src0_sel:WORD_1 src1_sel:DWORD
	ds_write2_b32 v69, v16, v1 offset1:225
	v_pack_b32_f16 v0, v0, v4
	s_waitcnt vmcnt(8)
	v_lshrrev_b32_e32 v1, 16, v10
	v_mul_f16_sdwa v4, v76, v6 dst_sel:DWORD dst_unused:UNUSED_PAD src0_sel:WORD_1 src1_sel:DWORD
	v_fmac_f16_e32 v2, v77, v3
	v_mul_f16_sdwa v3, v75, v10 dst_sel:DWORD dst_unused:UNUSED_PAD src0_sel:WORD_1 src1_sel:DWORD
	v_fma_f16 v6, v76, v6, -v7
	v_mul_f16_sdwa v7, v75, v1 dst_sel:DWORD dst_unused:UNUSED_PAD src0_sel:WORD_1 src1_sel:DWORD
	v_fmac_f16_e32 v4, v76, v8
	v_pack_b32_f16 v2, v2, v5
	v_fma_f16 v1, v75, v1, -v3
	s_waitcnt vmcnt(6)
	v_lshrrev_b32_e32 v3, 16, v14
	v_fmac_f16_e32 v7, v75, v10
	v_pack_b32_f16 v4, v4, v6
	v_mul_f16_sdwa v5, v74, v14 dst_sel:DWORD dst_unused:UNUSED_PAD src0_sel:WORD_1 src1_sel:DWORD
	s_waitcnt vmcnt(5)
	v_lshrrev_b32_e32 v6, 16, v13
	v_mul_f16_sdwa v8, v74, v3 dst_sel:DWORD dst_unused:UNUSED_PAD src0_sel:WORD_1 src1_sel:DWORD
	v_pack_b32_f16 v1, v7, v1
	v_mul_f16_sdwa v7, v73, v13 dst_sel:DWORD dst_unused:UNUSED_PAD src0_sel:WORD_1 src1_sel:DWORD
	v_fma_f16 v3, v74, v3, -v5
	v_mul_f16_sdwa v5, v73, v6 dst_sel:DWORD dst_unused:UNUSED_PAD src0_sel:WORD_1 src1_sel:DWORD
	s_waitcnt vmcnt(4)
	v_lshrrev_b32_e32 v10, 16, v9
	v_fmac_f16_e32 v8, v74, v14
	v_fma_f16 v6, v73, v6, -v7
	v_mul_f16_sdwa v7, v72, v9 dst_sel:DWORD dst_unused:UNUSED_PAD src0_sel:WORD_1 src1_sel:DWORD
	v_fmac_f16_e32 v5, v73, v13
	s_waitcnt vmcnt(3)
	v_lshrrev_b32_e32 v13, 16, v11
	s_waitcnt vmcnt(2)
	v_lshrrev_b32_e32 v16, 16, v12
	v_mul_f16_sdwa v14, v72, v10 dst_sel:DWORD dst_unused:UNUSED_PAD src0_sel:WORD_1 src1_sel:DWORD
	v_fma_f16 v7, v72, v10, -v7
	s_waitcnt vmcnt(1)
	v_mul_f16_sdwa v10, v71, v11 dst_sel:DWORD dst_unused:UNUSED_PAD src0_sel:WORD_1 src1_sel:DWORD
	v_mul_f16_sdwa v17, v71, v13 dst_sel:DWORD dst_unused:UNUSED_PAD src0_sel:WORD_1 src1_sel:DWORD
	s_waitcnt vmcnt(0)
	v_mul_f16_sdwa v20, v70, v12 dst_sel:DWORD dst_unused:UNUSED_PAD src0_sel:WORD_1 src1_sel:DWORD
	v_mul_f16_sdwa v21, v70, v16 dst_sel:DWORD dst_unused:UNUSED_PAD src0_sel:WORD_1 src1_sel:DWORD
	v_fmac_f16_e32 v14, v72, v9
	v_fma_f16 v9, v71, v13, -v10
	v_fmac_f16_e32 v17, v71, v11
	v_fma_f16 v10, v70, v16, -v20
	v_fmac_f16_e32 v21, v70, v12
	v_pack_b32_f16 v3, v8, v3
	v_mul_lo_u16 v12, v29, 5
	v_pack_b32_f16 v5, v5, v6
	v_pack_b32_f16 v6, v14, v7
	;; [unrolled: 1-line block ×4, first 2 shown]
	ds_write_b32 v69, v3 offset:1800
	ds_write2_b32 v87, v0, v5 offset0:4 offset1:229
	ds_write2_b32 v62, v2, v6 offset0:7 offset1:232
	;; [unrolled: 1-line block ×4, first 2 shown]
	s_waitcnt lgkmcnt(0)
	s_barrier
	buffer_gl0_inv
	ds_read2_b32 v[0:1], v69 offset1:225
	ds_read2_b32 v[2:3], v87 offset0:4 offset1:229
	ds_read2_b32 v[4:5], v90 offset0:6 offset1:231
	;; [unrolled: 1-line block ×5, first 2 shown]
	v_sub_nc_u16 v14, v49, v12
	ds_read2_b32 v[12:13], v89 offset0:8 offset1:233
	ds_read_b32 v17, v69 offset:12600
	v_lshrrev_b32_e32 v31, 18, v15
	v_lshlrev_b16 v16, 2, v32
	v_and_b32_e32 v33, 0xff, v14
	s_waitcnt lgkmcnt(0)
	s_barrier
	v_mul_lo_u16 v15, v31, 5
	v_lshlrev_b32_sdwa v14, v50, v16 dst_sel:DWORD dst_unused:UNUSED_PAD src0_sel:DWORD src1_sel:WORD_0
	buffer_gl0_inv
	v_sub_nc_u16 v34, v52, v15
	v_pk_add_f16 v15, v1, v2
	v_pk_add_f16 v20, v2, v5 neg_lo:[0,1] neg_hi:[0,1]
	v_pk_add_f16 v16, v5, v6
	v_pk_add_f16 v18, v2, v9 neg_lo:[0,1] neg_hi:[0,1]
	v_pk_add_f16 v19, v5, v6 neg_lo:[0,1] neg_hi:[0,1]
	;; [unrolled: 1-line block ×3, first 2 shown]
	v_pk_add_f16 v22, v2, v9
	v_pk_add_f16 v23, v10, v3
	;; [unrolled: 1-line block ×4, first 2 shown]
	v_pk_add_f16 v37, v11, v8 neg_lo:[0,1] neg_hi:[0,1]
	v_pk_add_f16 v38, v11, v8
	v_pk_add_f16 v42, v4, v13 neg_lo:[0,1] neg_hi:[0,1]
	v_pk_add_f16 v39, v12, v7
	v_pk_add_f16 v40, v3, v17
	v_pk_add_f16 v41, v11, v4 neg_lo:[0,1] neg_hi:[0,1]
	v_pk_add_f16 v11, v4, v11 neg_lo:[0,1] neg_hi:[0,1]
	;; [unrolled: 1-line block ×8, first 2 shown]
	v_pk_fma_f16 v16, v16, 0.5, v1 op_sel_hi:[1,0,1] neg_lo:[1,0,0] neg_hi:[1,0,0]
	v_pk_fma_f16 v1, v22, 0.5, v1 op_sel_hi:[1,0,1] neg_lo:[1,0,0] neg_hi:[1,0,0]
	v_pk_fma_f16 v22, v36, 0.5, v0 op_sel_hi:[1,0,1] neg_lo:[1,0,0] neg_hi:[1,0,0]
	v_pk_fma_f16 v0, v38, 0.5, v0 op_sel_hi:[1,0,1] neg_lo:[1,0,0] neg_hi:[1,0,0]
	v_pk_add_f16 v5, v15, v5
	v_pk_add_f16 v4, v35, v4
	;; [unrolled: 1-line block ×4, first 2 shown]
	v_pk_mul_f16 v21, 0x3b9c, v18 op_sel_hi:[0,1]
	v_pk_mul_f16 v23, 0x3b9c, v19 op_sel_hi:[0,1]
	;; [unrolled: 1-line block ×4, first 2 shown]
	v_pk_add_f16 v43, v6, v9 neg_lo:[0,1] neg_hi:[0,1]
	v_pk_add_f16 v45, v13, v8 neg_lo:[0,1] neg_hi:[0,1]
	;; [unrolled: 1-line block ×4, first 2 shown]
	v_pk_fma_f16 v15, v39, 0.5, v10 op_sel_hi:[1,0,1] neg_lo:[1,0,0] neg_hi:[1,0,0]
	v_pk_fma_f16 v10, v40, 0.5, v10 op_sel_hi:[1,0,1] neg_lo:[1,0,0] neg_hi:[1,0,0]
	v_pk_add_f16 v35, v41, v44
	v_pk_mul_f16 v40, 0x3b9c, v46 op_sel_hi:[0,1]
	v_pk_mul_f16 v41, 0x3b9c, v48 op_sel_hi:[0,1]
	;; [unrolled: 1-line block ×6, first 2 shown]
	v_pk_add_f16 v5, v5, v6
	v_pk_add_f16 v4, v4, v13
	;; [unrolled: 1-line block ×3, first 2 shown]
	v_pk_add_f16 v7, v16, v21 op_sel:[0,1] op_sel_hi:[1,0]
	v_pk_add_f16 v12, v16, v21 op_sel:[0,1] op_sel_hi:[1,0] neg_lo:[0,1] neg_hi:[0,1]
	v_pk_add_f16 v13, v1, v23 op_sel:[0,1] op_sel_hi:[1,0] neg_lo:[0,1] neg_hi:[0,1]
	v_pk_add_f16 v1, v1, v23 op_sel:[0,1] op_sel_hi:[1,0]
	v_pk_add_f16 v16, v22, v36 op_sel:[0,1] op_sel_hi:[1,0]
	v_pk_add_f16 v21, v22, v36 op_sel:[0,1] op_sel_hi:[1,0] neg_lo:[0,1] neg_hi:[0,1]
	v_pk_add_f16 v22, v0, v38 op_sel:[0,1] op_sel_hi:[1,0] neg_lo:[0,1] neg_hi:[0,1]
	v_pk_add_f16 v0, v0, v38 op_sel:[0,1] op_sel_hi:[1,0]
	v_pk_add_f16 v2, v2, v43
	v_pk_mul_f16 v43, 0x38b4, v48 op_sel_hi:[0,1]
	v_pk_mul_f16 v44, 0x38b4, v46 op_sel_hi:[0,1]
	v_pk_add_f16 v23, v15, v40 op_sel:[0,1] op_sel_hi:[1,0]
	v_pk_add_f16 v15, v15, v40 op_sel:[0,1] op_sel_hi:[1,0] neg_lo:[0,1] neg_hi:[0,1]
	v_pk_add_f16 v36, v10, v41 op_sel:[0,1] op_sel_hi:[1,0] neg_lo:[0,1] neg_hi:[0,1]
	v_pk_add_f16 v10, v10, v41 op_sel:[0,1] op_sel_hi:[1,0]
	v_pk_add_f16 v5, v5, v9
	v_pk_add_f16 v4, v4, v8
	v_pk_add_f16 v7, v7, v19 op_sel:[0,1] op_sel_hi:[1,0]
	v_pk_add_f16 v8, v12, v19 op_sel:[0,1] op_sel_hi:[1,0] neg_lo:[0,1] neg_hi:[0,1]
	v_pk_add_f16 v9, v13, v18 op_sel:[0,1] op_sel_hi:[1,0]
	v_pk_add_f16 v1, v1, v18 op_sel:[0,1] op_sel_hi:[1,0] neg_lo:[0,1] neg_hi:[0,1]
	;; [unrolled: 2-line block ×4, first 2 shown]
	v_pk_add_f16 v6, v6, v17
	v_pk_add_f16 v17, v23, v43 op_sel:[0,1] op_sel_hi:[1,0]
	v_pk_add_f16 v15, v15, v43 op_sel:[0,1] op_sel_hi:[1,0] neg_lo:[0,1] neg_hi:[0,1]
	v_pk_add_f16 v18, v36, v44 op_sel:[0,1] op_sel_hi:[1,0]
	v_pk_add_f16 v10, v10, v44 op_sel:[0,1] op_sel_hi:[1,0] neg_lo:[0,1] neg_hi:[0,1]
	v_bfi_b32 v19, 0xffff, v9, v1
	v_bfi_b32 v1, 0xffff, v1, v9
	v_bfi_b32 v9, 0xffff, v7, v8
	v_bfi_b32 v7, 0xffff, v8, v7
	v_bfi_b32 v8, 0xffff, v16, v0
	v_bfi_b32 v0, 0xffff, v0, v16
	v_bfi_b32 v16, 0xffff, v12, v13
	v_pk_add_f16 v11, v11, v45
	v_bfi_b32 v12, 0xffff, v13, v12
	v_pk_add_f16 v39, v47, v53
	v_pk_add_f16 v3, v3, v54
	v_bfi_b32 v13, 0xffff, v18, v10
	v_bfi_b32 v10, 0xffff, v10, v18
	;; [unrolled: 1-line block ×4, first 2 shown]
	v_pk_fma_f16 v17, 0x34f2, v2, v19 op_sel_hi:[0,1,1]
	v_pk_fma_f16 v1, 0x34f2, v2, v1 op_sel_hi:[0,1,1]
	;; [unrolled: 1-line block ×12, first 2 shown]
	ds_write2_b32 v59, v4, v9 offset1:1
	ds_write2_b32 v59, v8, v0 offset0:2 offset1:3
	ds_write_b32 v59, v11 offset:16
	ds_write2_b32 v60, v5, v2 offset1:1
	ds_write2_b32 v60, v17, v1 offset0:2 offset1:3
	ds_write_b32 v60, v7 offset:16
	ds_write2_b32 v61, v6, v12 offset1:1
	ds_write2_b32 v61, v13, v3 offset0:2 offset1:3
	ds_write_b32 v61, v10 offset:16
	v_lshlrev_b16 v0, 2, v34
	v_lshlrev_b32_e32 v1, 4, v33
	s_waitcnt lgkmcnt(0)
	s_barrier
	buffer_gl0_inv
	v_lshlrev_b32_sdwa v0, v50, v0 dst_sel:DWORD dst_unused:UNUSED_PAD src0_sel:DWORD src1_sel:WORD_0
	s_clause 0x2
	global_load_dwordx4 v[16:19], v14, s[2:3]
	global_load_dwordx4 v[12:15], v1, s[2:3]
	;; [unrolled: 1-line block ×3, first 2 shown]
	v_mov_b32_e32 v0, 0x47af
	v_mul_lo_u16 v3, v27, 41
	v_mad_u16 v8, v31, 25, v34
	v_mad_u16 v9, v30, 25, v32
	v_mul_u32_u24_sdwa v1, v51, v0 dst_sel:DWORD dst_unused:UNUSED_PAD src0_sel:WORD_0 src1_sel:DWORD
	v_mul_u32_u24_sdwa v0, v52, v0 dst_sel:DWORD dst_unused:UNUSED_PAD src0_sel:WORD_0 src1_sel:DWORD
	v_lshrrev_b16 v27, 10, v3
	v_lshlrev_b32_sdwa v106, v50, v8 dst_sel:DWORD dst_unused:UNUSED_PAD src0_sel:DWORD src1_sel:WORD_0
	v_lshlrev_b32_sdwa v105, v50, v9 dst_sel:DWORD dst_unused:UNUSED_PAD src0_sel:DWORD src1_sel:WORD_0
	v_lshrrev_b32_e32 v1, 16, v1
	v_lshrrev_b32_e32 v0, 16, v0
	v_sub_nc_u16 v2, v51, v1
	v_sub_nc_u16 v4, v52, v0
	v_lshrrev_b16 v2, 1, v2
	v_lshrrev_b16 v3, 1, v4
	v_add_nc_u16 v1, v2, v1
	v_mul_lo_u16 v2, v27, 25
	v_add_nc_u16 v0, v3, v0
	v_lshrrev_b16 v46, 4, v1
	v_sub_nc_u16 v2, v49, v2
	v_lshrrev_b16 v47, 4, v0
	v_mov_b32_e32 v1, 25
	v_mul_lo_u16 v0, v46, 25
	v_and_b32_e32 v35, 0xff, v2
	v_mul_lo_u16 v2, v47, 25
	v_mul_u32_u24_sdwa v1, v29, v1 dst_sel:DWORD dst_unused:UNUSED_PAD src0_sel:WORD_0 src1_sel:DWORD
	v_sub_nc_u16 v48, v51, v0
	v_sub_nc_u16 v55, v52, v2
	v_add_lshl_u32 v104, v1, v33, 2
	ds_read_b32 v33, v69 offset:12600
	ds_read2_b32 v[0:1], v89 offset0:8 offset1:233
	ds_read2_b32 v[2:3], v86 offset0:10 offset1:235
	;; [unrolled: 1-line block ×4, first 2 shown]
	v_lshlrev_b16 v10, 4, v48
	ds_read2_b32 v[8:9], v90 offset0:6 offset1:231
	v_lshlrev_b16 v11, 4, v55
	v_mad_u16 v46, 0x7d, v46, v48
	v_and_b32_e32 v31, 0xffff, v10
	v_and_b32_e32 v34, 0xffff, v11
	ds_read2_b32 v[10:11], v88 offset0:12 offset1:237
	ds_read2_b32 v[29:30], v69 offset1:225
	s_waitcnt vmcnt(0) lgkmcnt(0)
	v_add_co_u32 v31, s0, s2, v31
	v_add_co_ci_u32_e64 v32, null, s3, 0, s0
	s_barrier
	v_lshrrev_b32_e32 v36, 16, v33
	v_lshrrev_b32_e32 v42, 16, v1
	v_lshrrev_b32_e32 v53, 16, v2
	v_lshrrev_b32_e32 v43, 16, v4
	v_lshrrev_b32_e32 v41, 16, v7
	v_lshrrev_b32_e32 v37, 16, v0
	v_lshrrev_b32_e32 v44, 16, v8
	v_lshrrev_b32_e32 v45, 16, v9
	v_lshrrev_b32_e32 v38, 16, v3
	v_lshrrev_b32_e32 v39, 16, v5
	v_lshrrev_b32_e32 v40, 16, v6
	buffer_gl0_inv
	v_lshrrev_b32_e32 v56, 16, v11
	v_lshrrev_b32_e32 v54, 16, v10
	;; [unrolled: 1-line block ×4, first 2 shown]
	v_mul_f16_sdwa v67, v33, v19 dst_sel:DWORD dst_unused:UNUSED_PAD src0_sel:DWORD src1_sel:WORD_1
	v_mul_f16_sdwa v68, v0, v17 dst_sel:DWORD dst_unused:UNUSED_PAD src0_sel:DWORD src1_sel:WORD_1
	;; [unrolled: 1-line block ×24, first 2 shown]
	v_fmac_f16_e32 v67, v36, v19
	v_fmac_f16_e32 v68, v37, v17
	;; [unrolled: 1-line block ×4, first 2 shown]
	v_fma_f16 v7, v7, v12, -v97
	v_fma_f16 v1, v1, v14, -v99
	;; [unrolled: 1-line block ×7, first 2 shown]
	v_fmac_f16_e32 v98, v41, v12
	v_fmac_f16_e32 v108, v44, v13
	;; [unrolled: 1-line block ×7, first 2 shown]
	v_fma_f16 v33, v33, v19, -v66
	v_fma_f16 v0, v0, v17, -v92
	;; [unrolled: 1-line block ×5, first 2 shown]
	v_fmac_f16_e32 v114, v54, v15
	v_add_f16_e32 v42, v68, v93
	v_add_f16_e32 v43, v95, v67
	v_sub_f16_e32 v45, v68, v95
	v_sub_f16_e32 v53, v93, v67
	v_add_f16_e32 v94, v9, v2
	v_sub_f16_e32 v99, v9, v4
	v_sub_f16_e32 v101, v2, v11
	v_add_f16_e32 v103, v109, v111
	v_add_f16_e32 v107, v102, v115
	;; [unrolled: 1-line block ×8, first 2 shown]
	v_sub_f16_e32 v39, v0, v5
	v_sub_f16_e32 v41, v3, v33
	v_add_f16_e32 v121, v7, v10
	v_sub_f16_e32 v125, v98, v108
	v_sub_f16_e32 v129, v98, v114
	;; [unrolled: 1-line block ×3, first 2 shown]
	v_add_f16_e32 v98, v98, v114
	v_add_f16_e32 v97, v30, v4
	;; [unrolled: 1-line block ×6, first 2 shown]
	v_sub_f16_e32 v123, v7, v8
	v_sub_f16_e32 v130, v108, v100
	;; [unrolled: 1-line block ×5, first 2 shown]
	v_fma_f16 v42, -0.5, v42, v40
	v_fmac_f16_e32 v40, -0.5, v43
	v_add_f16_e32 v43, v45, v53
	v_fma_f16 v45, -0.5, v94, v30
	v_add_f16_e32 v53, v99, v101
	v_fma_f16 v94, -0.5, v103, v64
	v_fmac_f16_e32 v64, -0.5, v107
	v_fma_f16 v99, -0.5, v120, v29
	v_add_f16_e32 v8, v122, v8
	v_add_f16_e32 v107, v127, v108
	v_fma_f16 v108, -0.5, v128, v65
	v_sub_f16_e32 v54, v68, v93
	v_sub_f16_e32 v56, v0, v3
	;; [unrolled: 1-line block ×6, first 2 shown]
	v_fma_f16 v36, -0.5, v36, v6
	v_fmac_f16_e32 v6, -0.5, v37
	v_sub_f16_e32 v37, v33, v3
	v_add_f16_e32 v39, v39, v41
	v_sub_f16_e32 v41, v67, v93
	v_fma_f16 v29, -0.5, v121, v29
	v_fmac_f16_e32 v65, -0.5, v98
	v_sub_f16_e32 v117, v9, v2
	v_sub_f16_e32 v118, v102, v115
	;; [unrolled: 1-line block ×4, first 2 shown]
	v_add_f16_e32 v9, v97, v9
	v_add_f16_e32 v97, v110, v109
	v_sub_f16_e32 v116, v109, v111
	v_fmac_f16_e32 v30, -0.5, v96
	v_sub_f16_e32 v124, v10, v1
	v_sub_f16_e32 v126, v114, v100
	;; [unrolled: 1-line block ×4, first 2 shown]
	v_add_f16_e32 v0, v38, v0
	v_add_f16_e32 v38, v44, v68
	;; [unrolled: 1-line block ×4, first 2 shown]
	v_fmamk_f16 v100, v129, 0x3b9c, v99
	v_fmamk_f16 v107, v131, 0xbb9c, v108
	v_sub_f16_e32 v112, v109, v102
	v_sub_f16_e32 v102, v102, v109
	v_add_f16_e32 v5, v5, v37
	v_add_f16_e32 v37, v95, v41
	v_fmamk_f16 v41, v54, 0xbb9c, v6
	v_fmac_f16_e32 v6, 0x3b9c, v54
	v_fmamk_f16 v44, v56, 0x3b9c, v40
	v_fmac_f16_e32 v40, 0xbb9c, v56
	;; [unrolled: 2-line block ×4, first 2 shown]
	v_fmac_f16_e32 v99, 0xbb9c, v129
	v_fmac_f16_e32 v108, 0x3b9c, v131
	v_sub_f16_e32 v113, v111, v115
	v_sub_f16_e32 v136, v11, v2
	;; [unrolled: 1-line block ×3, first 2 shown]
	v_add_f16_e32 v2, v9, v2
	v_add_f16_e32 v9, v97, v111
	v_fmamk_f16 v97, v118, 0x3b9c, v45
	v_fmamk_f16 v111, v119, 0xbb9c, v94
	;; [unrolled: 1-line block ×3, first 2 shown]
	v_fmac_f16_e32 v30, 0x3b9c, v116
	v_fmamk_f16 v95, v117, 0x3b9c, v64
	v_fmac_f16_e32 v64, 0xbb9c, v117
	v_add_f16_e32 v101, v123, v124
	v_add_f16_e32 v103, v125, v126
	v_fmac_f16_e32 v45, 0xbb9c, v118
	v_fmac_f16_e32 v94, 0x3b9c, v119
	v_add_f16_e32 v0, v0, v3
	v_add_f16_e32 v3, v38, v93
	v_fmamk_f16 v38, v66, 0x3b9c, v36
	v_fmamk_f16 v93, v92, 0xbb9c, v42
	v_fmac_f16_e32 v36, 0xbb9c, v66
	v_fmac_f16_e32 v42, 0x3b9c, v92
	;; [unrolled: 1-line block ×4, first 2 shown]
	v_add_f16_e32 v7, v7, v133
	v_add_f16_e32 v98, v134, v135
	v_fmac_f16_e32 v6, 0xb8b4, v66
	v_fmac_f16_e32 v40, 0x38b4, v92
	;; [unrolled: 1-line block ×8, first 2 shown]
	v_add_f16_e32 v4, v4, v136
	v_add_f16_e32 v102, v102, v137
	v_fmac_f16_e32 v97, 0x38b4, v116
	v_fmac_f16_e32 v111, 0xb8b4, v117
	v_add_f16_e32 v96, v112, v113
	v_fmac_f16_e32 v30, 0xb8b4, v118
	v_fmac_f16_e32 v64, 0x38b4, v119
	;; [unrolled: 1-line block ×4, first 2 shown]
	v_add_f16_e32 v1, v1, v10
	v_add_f16_e32 v8, v8, v114
	v_fmac_f16_e32 v45, 0xb8b4, v116
	v_fmac_f16_e32 v94, 0x38b4, v117
	;; [unrolled: 1-line block ×10, first 2 shown]
	v_add_f16_e32 v0, v0, v33
	v_add_f16_e32 v3, v3, v67
	v_fmac_f16_e32 v6, 0x34f2, v39
	v_fmac_f16_e32 v40, 0x34f2, v43
	v_fmac_f16_e32 v109, 0x34f2, v7
	v_fmac_f16_e32 v29, 0x34f2, v7
	v_fmac_f16_e32 v110, 0x34f2, v98
	v_fmac_f16_e32 v65, 0x34f2, v98
	v_fmac_f16_e32 v99, 0x34f2, v101
	v_fmac_f16_e32 v108, 0x34f2, v103
	v_add_f16_e32 v2, v2, v11
	v_add_f16_e32 v9, v9, v115
	v_fmac_f16_e32 v97, 0x34f2, v4
	v_fmac_f16_e32 v111, 0x34f2, v102
	v_fmac_f16_e32 v30, 0x34f2, v53
	v_fmac_f16_e32 v64, 0x34f2, v96
	v_fmac_f16_e32 v68, 0x34f2, v53
	v_fmac_f16_e32 v95, 0x34f2, v96
	v_pack_b32_f16 v1, v1, v8
	v_fmac_f16_e32 v45, 0x34f2, v4
	v_fmac_f16_e32 v94, 0x34f2, v102
	;; [unrolled: 1-line block ×8, first 2 shown]
	v_pack_b32_f16 v5, v100, v107
	v_pack_b32_f16 v0, v0, v3
	;; [unrolled: 1-line block ×14, first 2 shown]
	ds_write2_b32 v104, v1, v5 offset1:5
	ds_write2_b32 v104, v6, v7 offset0:10 offset1:15
	ds_write_b32 v104, v8 offset:80
	ds_write2_b32 v106, v2, v9 offset1:5
	ds_write2_b32 v106, v10, v4 offset0:10 offset1:15
	ds_write_b32 v106, v11 offset:80
	;; [unrolled: 3-line block ×3, first 2 shown]
	v_add_co_u32 v8, s0, s2, v34
	v_lshlrev_b32_e32 v0, 4, v35
	v_add_co_ci_u32_e64 v9, null, s3, 0, s0
	s_waitcnt lgkmcnt(0)
	s_barrier
	buffer_gl0_inv
	s_clause 0x2
	global_load_dwordx4 v[4:7], v[31:32], off offset:80
	global_load_dwordx4 v[0:3], v0, s[2:3] offset:80
	global_load_dwordx4 v[8:11], v[8:9], off offset:80
	v_mov_b32_e32 v30, 0x625
	v_add_co_u32 v54, null, 0x384, v82
	v_add_co_u32 v53, null, 0x2a3, v82
	v_add_co_u32 v29, s0, 0xffffff83, v82
	v_add_co_ci_u32_e64 v32, null, 0, -1, s0
	v_mul_u32_u24_sdwa v33, v52, v30 dst_sel:DWORD dst_unused:UNUSED_PAD src0_sel:WORD_0 src1_sel:DWORD
	v_mul_u32_u24_sdwa v34, v54, v30 dst_sel:DWORD dst_unused:UNUSED_PAD src0_sel:WORD_0 src1_sel:DWORD
	;; [unrolled: 1-line block ×4, first 2 shown]
	v_cndmask_b32_e64 v30, v32, 0, vcc_lo
	v_lshrrev_b32_e32 v32, 16, v33
	v_lshrrev_b32_e32 v33, 16, v34
	;; [unrolled: 1-line block ×4, first 2 shown]
	v_mov_b32_e32 v31, 0x7d
	v_sub_nc_u16 v37, v52, v32
	v_sub_nc_u16 v38, v54, v33
	;; [unrolled: 1-line block ×4, first 2 shown]
	v_mul_u32_u24_sdwa v27, v27, v31 dst_sel:DWORD dst_unused:UNUSED_PAD src0_sel:WORD_0 src1_sel:DWORD
	v_lshrrev_b16 v37, 1, v37
	v_lshrrev_b16 v38, 1, v38
	;; [unrolled: 1-line block ×4, first 2 shown]
	v_add_lshl_u32 v93, v27, v35, 2
	v_add_nc_u16 v32, v37, v32
	v_add_nc_u16 v33, v38, v33
	v_add_nc_u16 v27, v39, v34
	v_add_nc_u16 v40, v40, v36
	v_cndmask_b32_e32 v29, v29, v82, vcc_lo
	v_lshrrev_b16 v67, 6, v32
	v_lshrrev_b16 v66, 6, v33
	ds_read_b32 v56, v69 offset:12600
	ds_read2_b32 v[32:33], v89 offset0:8 offset1:233
	ds_read2_b32 v[34:35], v86 offset0:10 offset1:235
	;; [unrolled: 1-line block ×4, first 2 shown]
	v_lshrrev_b16 v94, 6, v40
	ds_read2_b32 v[40:41], v90 offset0:6 offset1:231
	ds_read2_b32 v[42:43], v88 offset0:12 offset1:237
	v_lshrrev_b16 v68, 6, v27
	v_mul_lo_u16 v27, 0x7d, v66
	ds_read2_b32 v[44:45], v69 offset1:225
	v_mul_lo_u16 v64, 0x7d, v67
	v_mul_lo_u16 v92, 0x7d, v94
	;; [unrolled: 1-line block ×3, first 2 shown]
	v_sub_nc_u16 v95, v54, v27
	v_mad_u16 v27, 0x7d, v47, v55
	v_sub_nc_u16 v96, v52, v64
	v_sub_nc_u16 v98, v53, v92
	;; [unrolled: 1-line block ×3, first 2 shown]
	v_lshlrev_b64 v[30:31], 3, v[29:30]
	s_waitcnt lgkmcnt(7)
	v_lshrrev_b32_e32 v47, 16, v56
	s_waitcnt lgkmcnt(6)
	v_lshrrev_b32_e32 v48, 16, v32
	;; [unrolled: 2-line block ×4, first 2 shown]
	v_lshrrev_b32_e32 v103, 16, v34
	v_lshrrev_b32_e32 v64, 16, v37
	s_waitcnt lgkmcnt(2)
	v_lshrrev_b32_e32 v102, 16, v41
	s_waitcnt lgkmcnt(1)
	v_lshrrev_b32_e32 v108, 16, v43
	v_lshrrev_b32_e32 v92, 16, v39
	;; [unrolled: 1-line block ×6, first 2 shown]
	s_waitcnt lgkmcnt(0)
	v_lshrrev_b32_e32 v109, 16, v45
	v_lshrrev_b32_e32 v110, 16, v44
	v_add_co_u32 v30, vcc_lo, s2, v30
	v_lshlrev_b16 v139, 3, v98
	v_add_co_ci_u32_e32 v31, vcc_lo, s3, v31, vcc_lo
	s_waitcnt vmcnt(0)
	s_barrier
	buffer_gl0_inv
	v_cmp_lt_u16_e32 vcc_lo, 0x7c, v49
	v_mul_f16_sdwa v112, v56, v7 dst_sel:DWORD dst_unused:UNUSED_PAD src0_sel:DWORD src1_sel:WORD_1
	v_mul_f16_sdwa v113, v32, v5 dst_sel:DWORD dst_unused:UNUSED_PAD src0_sel:DWORD src1_sel:WORD_1
	;; [unrolled: 1-line block ×24, first 2 shown]
	v_fmac_f16_e32 v112, v47, v7
	v_fmac_f16_e32 v113, v48, v5
	v_fmac_f16_e32 v115, v55, v6
	v_fmac_f16_e32 v117, v64, v4
	v_fma_f16 v48, v35, v6, -v116
	v_fma_f16 v36, v36, v8, -v123
	;; [unrolled: 1-line block ×5, first 2 shown]
	v_fmac_f16_e32 v124, v100, v8
	v_fmac_f16_e32 v128, v102, v9
	;; [unrolled: 1-line block ×4, first 2 shown]
	v_fma_f16 v56, v56, v7, -v111
	v_fma_f16 v47, v32, v5, -v114
	v_fma_f16 v37, v37, v4, -v118
	v_fma_f16 v39, v39, v0, -v119
	v_fma_f16 v32, v33, v2, -v121
	v_fma_f16 v33, v40, v1, -v125
	v_fma_f16 v40, v42, v3, -v131
	v_fmac_f16_e32 v120, v92, v0
	v_fmac_f16_e32 v127, v101, v1
	;; [unrolled: 1-line block ×4, first 2 shown]
	v_add_f16_e32 v99, v113, v115
	v_add_f16_e32 v100, v117, v112
	v_sub_f16_e32 v101, v113, v117
	v_sub_f16_e32 v102, v115, v112
	v_add_f16_e32 v107, v35, v34
	v_add_f16_e32 v108, v36, v41
	v_sub_f16_e32 v114, v35, v36
	v_sub_f16_e32 v116, v34, v41
	;; [unrolled: 4-line block ×4, first 2 shown]
	v_add_f16_e32 v103, v65, v117
	v_add_f16_e32 v111, v45, v36
	;; [unrolled: 1-line block ×3, first 2 shown]
	v_sub_f16_e32 v126, v39, v33
	v_sub_f16_e32 v129, v40, v32
	;; [unrolled: 1-line block ×4, first 2 shown]
	v_add_f16_e32 v136, v127, v122
	v_fma_f16 v99, -0.5, v99, v65
	v_fmac_f16_e32 v65, -0.5, v100
	v_sub_f16_e32 v100, v127, v120
	v_add_f16_e32 v137, v101, v102
	v_add_f16_e32 v101, v120, v133
	v_fma_f16 v107, -0.5, v107, v45
	v_fmac_f16_e32 v45, -0.5, v108
	v_sub_f16_e32 v102, v122, v133
	v_add_f16_e32 v108, v114, v116
	v_sub_f16_e32 v114, v36, v35
	v_fma_f16 v116, -0.5, v118, v109
	v_fmac_f16_e32 v109, -0.5, v119
	v_add_f16_e32 v119, v123, v125
	v_sub_f16_e32 v123, v41, v34
	v_add_f16_e32 v55, v38, v37
	v_fma_f16 v42, -0.5, v42, v38
	v_fmac_f16_e32 v38, -0.5, v43
	v_sub_f16_e32 v43, v33, v39
	v_add_f16_e32 v64, v64, v92
	v_sub_f16_e32 v92, v32, v40
	v_add_f16_e32 v135, v110, v120
	;; [unrolled: 2-line block ×4, first 2 shown]
	v_fma_f16 v132, -0.5, v136, v110
	v_fmac_f16_e32 v110, -0.5, v101
	v_add_f16_e32 v101, v44, v39
	v_add_f16_e32 v100, v100, v102
	v_sub_f16_e32 v102, v117, v113
	v_add_f16_e32 v114, v114, v123
	v_sub_f16_e32 v123, v112, v115
	v_sub_f16_e32 v131, v37, v47
	v_add_f16_e32 v43, v43, v92
	v_sub_f16_e32 v92, v56, v48
	v_add_f16_e32 v118, v118, v126
	v_lshlrev_b16 v126, 3, v95
	v_add_f16_e32 v101, v101, v33
	v_add_f16_e32 v123, v102, v123
	;; [unrolled: 1-line block ×4, first 2 shown]
	v_lshlrev_b16 v131, 3, v96
	v_add_f16_e32 v136, v33, v32
	v_sub_f16_e32 v135, v33, v32
	v_add_f16_e32 v138, v101, v32
	v_lshlrev_b16 v32, 3, v97
	v_sub_f16_e32 v127, v127, v122
	v_add_f16_e32 v122, v102, v122
	v_lshlrev_b32_sdwa v102, v50, v27 dst_sel:DWORD dst_unused:UNUSED_PAD src0_sel:DWORD src1_sel:WORD_0
	v_and_b32_e32 v27, 0xffff, v126
	v_lshlrev_b32_sdwa v101, v50, v46 dst_sel:DWORD dst_unused:UNUSED_PAD src0_sel:DWORD src1_sel:WORD_0
	v_add_f16_e32 v33, v111, v35
	v_and_b32_e32 v46, 0xffff, v131
	v_and_b32_e32 v111, 0xffff, v32
	v_add_co_u32 v32, s0, s2, v27
	v_sub_f16_e32 v126, v35, v34
	v_add_f16_e32 v35, v121, v128
	v_add_f16_e32 v121, v33, v34
	v_add_co_ci_u32_e64 v33, null, s3, 0, s0
	v_add_co_u32 v34, s0, s2, v46
	v_add_f16_e32 v46, v55, v47
	v_sub_f16_e32 v47, v47, v48
	v_sub_f16_e32 v55, v120, v133
	v_add_f16_e32 v103, v103, v113
	v_sub_f16_e32 v120, v124, v134
	v_add_f16_e32 v46, v46, v48
	v_add_f16_e32 v48, v39, v40
	v_fma_f16 v124, -0.5, v136, v44
	v_sub_f16_e32 v27, v128, v130
	v_add_f16_e32 v128, v35, v130
	v_sub_f16_e32 v113, v113, v115
	v_fma_f16 v44, -0.5, v48, v44
	v_add_f16_e32 v48, v103, v115
	v_fmamk_f16 v103, v55, 0x3b9c, v124
	v_fmac_f16_e32 v124, 0xbb9c, v55
	v_sub_f16_e32 v39, v39, v40
	v_fmamk_f16 v115, v127, 0xbb9c, v44
	v_fmac_f16_e32 v44, 0x3b9c, v127
	v_fmamk_f16 v130, v135, 0x3b9c, v110
	v_fmac_f16_e32 v110, 0xbb9c, v135
	v_sub_f16_e32 v36, v36, v41
	v_sub_f16_e32 v117, v117, v112
	;; [unrolled: 1-line block ×3, first 2 shown]
	v_fmac_f16_e32 v103, 0x38b4, v127
	v_fmac_f16_e32 v124, 0xb8b4, v127
	v_fmamk_f16 v127, v126, 0x3b9c, v109
	v_fmac_f16_e32 v109, 0xbb9c, v126
	v_fmamk_f16 v131, v120, 0x3b9c, v107
	v_fmac_f16_e32 v107, 0xbb9c, v120
	v_fmac_f16_e32 v115, 0x38b4, v55
	;; [unrolled: 1-line block ×3, first 2 shown]
	v_fmamk_f16 v55, v39, 0xbb9c, v132
	v_fmac_f16_e32 v132, 0x3b9c, v39
	v_fmac_f16_e32 v130, 0xb8b4, v39
	;; [unrolled: 1-line block ×3, first 2 shown]
	v_fmamk_f16 v39, v27, 0xbb9c, v45
	v_fmac_f16_e32 v45, 0x3b9c, v27
	v_add_f16_e32 v41, v121, v41
	v_fmamk_f16 v121, v36, 0xbb9c, v116
	v_fmac_f16_e32 v116, 0x3b9c, v36
	v_fmac_f16_e32 v109, 0x38b4, v36
	;; [unrolled: 1-line block ×3, first 2 shown]
	v_fmamk_f16 v36, v117, 0x3b9c, v42
	v_fmac_f16_e32 v131, 0x38b4, v27
	v_fmac_f16_e32 v107, 0xb8b4, v27
	v_fmamk_f16 v27, v37, 0xbb9c, v99
	v_add_f16_e32 v122, v122, v133
	v_fmac_f16_e32 v55, 0xb8b4, v135
	v_fmamk_f16 v133, v113, 0xbb9c, v38
	v_fmac_f16_e32 v38, 0x3b9c, v113
	v_fmac_f16_e32 v45, 0xb8b4, v120
	;; [unrolled: 1-line block ×3, first 2 shown]
	v_fmamk_f16 v120, v47, 0x3b9c, v65
	v_fmac_f16_e32 v65, 0xbb9c, v47
	v_fmac_f16_e32 v42, 0xbb9c, v117
	;; [unrolled: 1-line block ×7, first 2 shown]
	v_add_f16_e32 v40, v138, v40
	v_fmac_f16_e32 v116, 0x38b4, v126
	v_fmac_f16_e32 v38, 0xb8b4, v117
	;; [unrolled: 1-line block ×11, first 2 shown]
	v_add_f16_e32 v128, v128, v134
	v_add_f16_e32 v46, v46, v56
	;; [unrolled: 1-line block ×3, first 2 shown]
	v_fmac_f16_e32 v115, 0x34f2, v43
	v_fmac_f16_e32 v44, 0x34f2, v43
	;; [unrolled: 1-line block ×14, first 2 shown]
	v_pack_b32_f16 v37, v40, v122
	v_fmac_f16_e32 v107, 0x34f2, v114
	v_fmac_f16_e32 v116, 0x34f2, v118
	;; [unrolled: 1-line block ×6, first 2 shown]
	v_pack_b32_f16 v43, v45, v109
	v_pack_b32_f16 v45, v103, v55
	;; [unrolled: 1-line block ×7, first 2 shown]
	v_add_co_ci_u32_e64 v35, null, s3, 0, s0
	v_pack_b32_f16 v48, v131, v121
	v_pack_b32_f16 v39, v39, v127
	;; [unrolled: 1-line block ×7, first 2 shown]
	ds_write2_b32 v93, v37, v45 offset1:25
	ds_write2_b32 v93, v46, v44 offset0:50 offset1:75
	ds_write_b32 v93, v47 offset:400
	ds_write2_b32 v102, v40, v48 offset1:25
	ds_write2_b32 v102, v39, v43 offset0:50 offset1:75
	ds_write_b32 v102, v55 offset:400
	;; [unrolled: 3-line block ×3, first 2 shown]
	v_and_b32_e32 v27, 0xffff, v139
	s_waitcnt lgkmcnt(0)
	s_barrier
	buffer_gl0_inv
	s_clause 0x2
	global_load_dwordx2 v[41:42], v[32:33], off offset:480
	global_load_dwordx2 v[37:38], v[30:31], off offset:480
	;; [unrolled: 1-line block ×3, first 2 shown]
	v_add_co_u32 v32, s0, s2, v111
	v_add_co_ci_u32_e64 v33, null, s3, 0, s0
	v_add_co_u32 v30, s0, s2, v27
	v_add_co_ci_u32_e64 v31, null, s3, 0, s0
	global_load_dwordx2 v[43:44], v[32:33], off offset:480
	v_mov_b32_e32 v27, 0x5d87
	v_add_co_u32 v34, s0, 0xffffff6a, v82
	global_load_dwordx2 v[45:46], v[30:31], off offset:480
	v_cndmask_b32_e64 v31, 0, 0x177, vcc_lo
	v_mul_u32_u24_sdwa v30, v53, v27 dst_sel:DWORD dst_unused:UNUSED_PAD src0_sel:WORD_0 src1_sel:DWORD
	v_mul_u32_u24_sdwa v27, v54, v27 dst_sel:DWORD dst_unused:UNUSED_PAD src0_sel:WORD_0 src1_sel:DWORD
	v_add_co_ci_u32_e64 v35, null, 0, -1, s0
	v_cmp_gt_u16_e32 vcc_lo, 0x96, v49
	v_lshrrev_b32_e32 v30, 16, v30
	v_lshrrev_b32_e32 v27, 16, v27
	v_lshlrev_b32_e32 v100, 3, v82
	v_add_lshl_u32 v92, v29, v31, 2
	v_cndmask_b32_e32 v47, v34, v52, vcc_lo
	v_sub_nc_u16 v32, v53, v30
	v_sub_nc_u16 v33, v54, v27
	v_cndmask_b32_e32 v48, v35, v28, vcc_lo
	v_add_co_u32 v55, s0, s2, v100
	v_lshrrev_b16 v32, 1, v32
	v_lshrrev_b16 v33, 1, v33
	v_add_co_ci_u32_e64 v56, null, s3, 0, s0
	v_add_co_u32 v29, vcc_lo, 0x800, v55
	v_add_nc_u16 v30, v32, v30
	v_add_nc_u16 v32, v33, v27
	v_lshlrev_b64 v[27:28], 3, v[47:48]
	v_lshrrev_b16 v48, 8, v30
	v_lshrrev_b16 v31, 8, v32
	v_add_co_ci_u32_e32 v30, vcc_lo, 0, v56, vcc_lo
	v_mul_lo_u16 v33, 0x177, v48
	v_mul_lo_u16 v34, 0x177, v31
	v_add_co_u32 v31, vcc_lo, s2, v27
	v_add_co_ci_u32_e32 v32, vcc_lo, s3, v28, vcc_lo
	v_sub_nc_u16 v64, v54, v34
	v_sub_nc_u16 v65, v53, v33
	v_mad_u16 v27, 0x177, v67, v96
	v_mad_u16 v28, 0x177, v68, v97
	;; [unrolled: 1-line block ×4, first 2 shown]
	v_lshlrev_b16 v35, 3, v64
	v_lshlrev_b16 v36, 3, v65
	v_lshlrev_b32_sdwa v99, v50, v27 dst_sel:DWORD dst_unused:UNUSED_PAD src0_sel:DWORD src1_sel:WORD_0
	v_lshlrev_b32_sdwa v98, v50, v28 dst_sel:DWORD dst_unused:UNUSED_PAD src0_sel:DWORD src1_sel:WORD_0
	v_lshlrev_b32_sdwa v96, v50, v33 dst_sel:DWORD dst_unused:UNUSED_PAD src0_sel:DWORD src1_sel:WORD_0
	v_lshlrev_b32_sdwa v97, v50, v34 dst_sel:DWORD dst_unused:UNUSED_PAD src0_sel:DWORD src1_sel:WORD_0
	v_and_b32_e32 v68, 0xffff, v35
	ds_read_b32 v103, v69 offset:12600
	ds_read2_b32 v[27:28], v89 offset0:8 offset1:233
	ds_read2_b32 v[33:34], v87 offset0:4 offset1:229
	v_and_b32_e32 v113, 0xffff, v36
	ds_read2_b32 v[35:36], v86 offset0:10 offset1:235
	ds_read2_b32 v[66:67], v90 offset0:6 offset1:231
	ds_read2_b32 v[94:95], v69 offset1:225
	ds_read2_b32 v[109:110], v88 offset0:12 offset1:237
	ds_read2_b32 v[111:112], v91 offset0:2 offset1:227
	v_add_co_u32 v107, s0, s2, v68
	v_add_co_ci_u32_e64 v108, null, s3, 0, s0
	v_add_co_u32 v113, s0, s2, v113
	v_add_co_ci_u32_e64 v114, null, s3, 0, s0
	s_waitcnt vmcnt(0) lgkmcnt(0)
	s_barrier
	buffer_gl0_inv
	v_cmp_lt_u16_e32 vcc_lo, 0x95, v49
	v_lshlrev_b32_e32 v54, 3, v54
	v_lshrrev_b32_e32 v68, 16, v103
	v_lshrrev_b32_e32 v115, 16, v28
	v_lshrrev_b32_e32 v118, 16, v35
	v_lshrrev_b32_e32 v119, 16, v36
	v_lshrrev_b32_e32 v120, 16, v66
	v_lshrrev_b32_e32 v123, 16, v67
	v_lshrrev_b32_e32 v117, 16, v34
	v_lshrrev_b32_e32 v124, 16, v27
	v_lshrrev_b32_e32 v125, 16, v109
	v_lshrrev_b32_e32 v126, 16, v110
	v_lshrrev_b32_e32 v121, 16, v95
	v_lshrrev_b32_e32 v122, 16, v94
	v_lshrrev_b32_e32 v116, 16, v33
	v_lshrrev_b32_e32 v128, 16, v111
	v_lshrrev_b32_e32 v127, 16, v112
	v_cndmask_b32_e64 v49, 0, 0x465, vcc_lo
	v_mul_f16_sdwa v133, v118, v38 dst_sel:DWORD dst_unused:UNUSED_PAD src0_sel:DWORD src1_sel:WORD_1
	v_mul_f16_sdwa v134, v119, v40 dst_sel:DWORD dst_unused:UNUSED_PAD src0_sel:DWORD src1_sel:WORD_1
	;; [unrolled: 1-line block ×6, first 2 shown]
	v_fma_f16 v35, v35, v38, -v133
	v_fma_f16 v133, v36, v40, -v134
	v_mul_f16_sdwa v36, v36, v40 dst_sel:DWORD dst_unused:UNUSED_PAD src0_sel:DWORD src1_sel:WORD_1
	v_mul_f16_sdwa v134, v66, v39 dst_sel:DWORD dst_unused:UNUSED_PAD src0_sel:DWORD src1_sel:WORD_1
	;; [unrolled: 1-line block ×5, first 2 shown]
	v_fma_f16 v66, v66, v39, -v136
	v_fma_f16 v103, v103, v42, -v129
	v_mul_f16_sdwa v129, v34, v37 dst_sel:DWORD dst_unused:UNUSED_PAD src0_sel:DWORD src1_sel:WORD_1
	v_fmac_f16_e32 v131, v115, v41
	v_mul_f16_sdwa v115, v27, v45 dst_sel:DWORD dst_unused:UNUSED_PAD src0_sel:DWORD src1_sel:WORD_1
	v_fmac_f16_e32 v36, v119, v40
	v_fmac_f16_e32 v134, v120, v39
	v_mul_f16_sdwa v120, v110, v46 dst_sel:DWORD dst_unused:UNUSED_PAD src0_sel:DWORD src1_sel:WORD_1
	v_fma_f16 v136, v67, v43, -v137
	v_mul_f16_sdwa v67, v67, v43 dst_sel:DWORD dst_unused:UNUSED_PAD src0_sel:DWORD src1_sel:WORD_1
	v_mul_f16_sdwa v137, v117, v37 dst_sel:DWORD dst_unused:UNUSED_PAD src0_sel:DWORD src1_sel:WORD_1
	v_fmac_f16_e32 v130, v68, v42
	v_mul_f16_sdwa v68, v124, v45 dst_sel:DWORD dst_unused:UNUSED_PAD src0_sel:DWORD src1_sel:WORD_1
	v_fmac_f16_e32 v129, v117, v37
	;; [unrolled: 2-line block ×3, first 2 shown]
	v_mul_f16_sdwa v118, v126, v46 dst_sel:DWORD dst_unused:UNUSED_PAD src0_sel:DWORD src1_sel:WORD_1
	v_mul_f16_sdwa v119, v109, v44 dst_sel:DWORD dst_unused:UNUSED_PAD src0_sel:DWORD src1_sel:WORD_1
	v_fmac_f16_e32 v115, v124, v45
	v_fmac_f16_e32 v120, v126, v46
	v_add_f16_e32 v124, v66, v133
	v_add_f16_e32 v126, v134, v36
	v_fma_f16 v28, v28, v41, -v132
	v_fma_f16 v34, v34, v37, -v137
	;; [unrolled: 1-line block ×5, first 2 shown]
	v_fmac_f16_e32 v67, v123, v43
	v_fmac_f16_e32 v119, v125, v44
	v_add_f16_e32 v118, v131, v130
	v_add_f16_e32 v125, v95, v66
	;; [unrolled: 1-line block ×3, first 2 shown]
	v_fmac_f16_e32 v95, -0.5, v124
	v_add_f16_e32 v124, v122, v129
	v_fmac_f16_e32 v121, -0.5, v126
	v_add_f16_e32 v126, v129, v135
	v_add_f16_e32 v110, v28, v103
	v_add_f16_e32 v123, v116, v131
	v_sub_f16_e32 v134, v134, v36
	v_fmac_f16_e32 v116, -0.5, v118
	v_add_f16_e32 v118, v94, v34
	v_sub_f16_e32 v129, v129, v135
	v_add_f16_e32 v124, v124, v135
	v_add_f16_e32 v135, v27, v109
	v_fmac_f16_e32 v122, -0.5, v126
	v_add_f16_e32 v126, v115, v120
	v_add_f16_e32 v36, v132, v36
	;; [unrolled: 1-line block ×4, first 2 shown]
	v_fmac_f16_e32 v33, -0.5, v110
	v_add_f16_e32 v110, v34, v35
	v_sub_f16_e32 v66, v66, v133
	v_sub_f16_e32 v34, v34, v35
	v_add_f16_e32 v35, v118, v35
	v_add_f16_e32 v118, v112, v27
	;; [unrolled: 1-line block ×4, first 2 shown]
	v_fmac_f16_e32 v112, -0.5, v135
	v_add_f16_e32 v135, v111, v136
	v_fmac_f16_e32 v127, -0.5, v126
	v_add_f16_e32 v126, v67, v119
	v_sub_f16_e32 v67, v67, v119
	v_add_f16_e32 v119, v132, v119
	v_add_f16_e32 v132, v136, v68
	v_fma_f16 v94, -0.5, v110, v94
	v_sub_f16_e32 v28, v28, v103
	v_sub_f16_e32 v136, v136, v68
	;; [unrolled: 1-line block ×5, first 2 shown]
	v_add_f16_e32 v68, v135, v68
	v_fmac_f16_e32 v128, -0.5, v126
	v_fma_f16 v110, -0.5, v132, v111
	v_add_f16_e32 v103, v117, v103
	v_add_f16_e32 v117, v123, v130
	v_fmamk_f16 v123, v66, 0xbaee, v121
	v_fmac_f16_e32 v121, 0x3aee, v66
	v_pack_b32_f16 v35, v35, v124
	v_fmamk_f16 v66, v129, 0x3aee, v94
	v_fmamk_f16 v124, v34, 0xbaee, v122
	v_fmac_f16_e32 v94, 0xbaee, v129
	v_fmac_f16_e32 v122, 0x3aee, v34
	v_add_f16_e32 v109, v118, v109
	v_add_f16_e32 v118, v133, v120
	v_fmamk_f16 v120, v28, 0xbaee, v116
	v_fmac_f16_e32 v116, 0x3aee, v28
	v_fmamk_f16 v28, v134, 0x3aee, v95
	v_fmac_f16_e32 v95, 0xbaee, v134
	;; [unrolled: 2-line block ×3, first 2 shown]
	v_pack_b32_f16 v34, v125, v36
	v_fmamk_f16 v36, v115, 0x3aee, v112
	v_fmac_f16_e32 v112, 0xbaee, v115
	v_fmamk_f16 v115, v27, 0xbaee, v127
	v_fmac_f16_e32 v127, 0x3aee, v27
	v_pack_b32_f16 v27, v68, v119
	v_fmamk_f16 v68, v67, 0x3aee, v110
	v_fmamk_f16 v119, v136, 0xbaee, v128
	v_fmac_f16_e32 v110, 0xbaee, v67
	v_fmac_f16_e32 v128, 0x3aee, v136
	v_pack_b32_f16 v66, v66, v124
	v_pack_b32_f16 v94, v94, v122
	;; [unrolled: 1-line block ×12, first 2 shown]
	ds_write2_b32 v92, v35, v66 offset1:125
	ds_write_b32 v92, v94 offset:1000
	ds_write2_b32 v99, v34, v28 offset1:125
	ds_write_b32 v99, v95 offset:1000
	;; [unrolled: 2-line block ×5, first 2 shown]
	s_waitcnt lgkmcnt(0)
	s_barrier
	buffer_gl0_inv
	s_clause 0x4
	global_load_dwordx2 v[35:36], v[107:108], off offset:1480
	global_load_dwordx2 v[29:30], v[29:30], off offset:32
	;; [unrolled: 1-line block ×3, first 2 shown]
	global_load_dwordx2 v[27:28], v100, s[2:3] offset:1480
	global_load_dwordx2 v[31:32], v[31:32], off offset:1480
	v_lshlrev_b32_e32 v66, 3, v52
	v_lshlrev_b32_e32 v67, 3, v51
	v_add_lshl_u32 v94, v47, v49, 2
	v_add_co_u32 v51, vcc_lo, 0x1000, v55
	v_add_co_u32 v47, s0, s2, v66
	v_lshlrev_b32_e32 v68, 3, v53
	v_add_co_ci_u32_e32 v52, vcc_lo, 0, v56, vcc_lo
	v_add_co_ci_u32_e64 v49, null, s3, 0, s0
	v_add_co_u32 v95, s0, s2, v54
	ds_read_b32 v103, v69 offset:12600
	ds_read2_b32 v[53:54], v89 offset0:8 offset1:233
	ds_read2_b32 v[55:56], v86 offset0:10 offset1:235
	v_add_co_ci_u32_e64 v100, null, s3, 0, s0
	v_add_co_u32 v117, s0, s2, v67
	ds_read2_b32 v[66:67], v90 offset0:6 offset1:231
	ds_read2_b32 v[107:108], v88 offset0:12 offset1:237
	;; [unrolled: 1-line block ×3, first 2 shown]
	ds_read2_b32 v[111:112], v69 offset1:225
	ds_read2_b32 v[113:114], v91 offset0:2 offset1:227
	v_add_co_u32 v115, vcc_lo, 0x1000, v47
	v_add_co_ci_u32_e32 v116, vcc_lo, 0, v49, vcc_lo
	v_mad_u16 v49, 0x465, v48, v65
	v_add_co_u32 v47, vcc_lo, 0x1000, v95
	v_add_co_ci_u32_e32 v48, vcc_lo, 0, v100, vcc_lo
	v_lshlrev_b32_sdwa v95, v50, v64 dst_sel:DWORD dst_unused:UNUSED_PAD src0_sel:DWORD src1_sel:WORD_0
	v_lshlrev_b32_sdwa v100, v50, v49 dst_sel:DWORD dst_unused:UNUSED_PAD src0_sel:DWORD src1_sel:WORD_0
	s_waitcnt vmcnt(0) lgkmcnt(0)
	v_lshrrev_b32_e32 v49, 16, v103
	v_lshrrev_b32_e32 v121, 16, v53
	;; [unrolled: 1-line block ×13, first 2 shown]
	s_barrier
	buffer_gl0_inv
	v_add_co_ci_u32_e64 v118, null, s3, 0, s0
	v_add_co_u32 v68, s0, s2, v68
	v_mul_f16_sdwa v129, v50, v35 dst_sel:DWORD dst_unused:UNUSED_PAD src0_sel:DWORD src1_sel:WORD_1
	v_mul_f16_sdwa v128, v54, v35 dst_sel:DWORD dst_unused:UNUSED_PAD src0_sel:DWORD src1_sel:WORD_1
	v_mul_f16_sdwa v138, v121, v33 dst_sel:DWORD dst_unused:UNUSED_PAD src0_sel:DWORD src1_sel:WORD_1
	v_mul_f16_sdwa v130, v64, v28 dst_sel:DWORD dst_unused:UNUSED_PAD src0_sel:DWORD src1_sel:WORD_1
	v_mul_f16_sdwa v134, v119, v31 dst_sel:DWORD dst_unused:UNUSED_PAD src0_sel:DWORD src1_sel:WORD_1
	v_mul_f16_sdwa v131, v65, v32 dst_sel:DWORD dst_unused:UNUSED_PAD src0_sel:DWORD src1_sel:WORD_1
	v_mul_f16_sdwa v133, v56, v32 dst_sel:DWORD dst_unused:UNUSED_PAD src0_sel:DWORD src1_sel:WORD_1
	v_mul_f16_sdwa v136, v66, v31 dst_sel:DWORD dst_unused:UNUSED_PAD src0_sel:DWORD src1_sel:WORD_1
	v_mul_f16_sdwa v132, v55, v28 dst_sel:DWORD dst_unused:UNUSED_PAD src0_sel:DWORD src1_sel:WORD_1
	v_fma_f16 v66, v66, v31, -v134
	v_mul_f16_sdwa v134, v53, v33 dst_sel:DWORD dst_unused:UNUSED_PAD src0_sel:DWORD src1_sel:WORD_1
	v_fma_f16 v53, v53, v33, -v138
	v_mul_f16_sdwa v138, v103, v36 dst_sel:DWORD dst_unused:UNUSED_PAD src0_sel:DWORD src1_sel:WORD_1
	v_mul_f16_sdwa v135, v120, v29 dst_sel:DWORD dst_unused:UNUSED_PAD src0_sel:DWORD src1_sel:WORD_1
	v_fma_f16 v55, v55, v28, -v130
	v_fma_f16 v56, v56, v32, -v131
	v_mul_f16_sdwa v130, v122, v30 dst_sel:DWORD dst_unused:UNUSED_PAD src0_sel:DWORD src1_sel:WORD_1
	v_mul_f16_sdwa v131, v123, v34 dst_sel:DWORD dst_unused:UNUSED_PAD src0_sel:DWORD src1_sel:WORD_1
	v_fma_f16 v54, v54, v35, -v129
	v_mul_f16_sdwa v129, v49, v36 dst_sel:DWORD dst_unused:UNUSED_PAD src0_sel:DWORD src1_sel:WORD_1
	v_fmac_f16_e32 v138, v49, v36
	v_mul_f16_sdwa v49, v127, v27 dst_sel:DWORD dst_unused:UNUSED_PAD src0_sel:DWORD src1_sel:WORD_1
	v_fmac_f16_e32 v136, v119, v31
	v_fmac_f16_e32 v133, v65, v32
	v_mul_f16_sdwa v137, v67, v29 dst_sel:DWORD dst_unused:UNUSED_PAD src0_sel:DWORD src1_sel:WORD_1
	v_fma_f16 v67, v67, v29, -v135
	v_mul_f16_sdwa v135, v107, v30 dst_sel:DWORD dst_unused:UNUSED_PAD src0_sel:DWORD src1_sel:WORD_1
	v_fma_f16 v107, v107, v30, -v130
	v_fma_f16 v130, v108, v34, -v131
	v_mul_f16_sdwa v108, v108, v34 dst_sel:DWORD dst_unused:UNUSED_PAD src0_sel:DWORD src1_sel:WORD_1
	v_fma_f16 v103, v103, v36, -v129
	v_mul_f16_sdwa v129, v110, v27 dst_sel:DWORD dst_unused:UNUSED_PAD src0_sel:DWORD src1_sel:WORD_1
	v_fmac_f16_e32 v128, v50, v35
	v_fmac_f16_e32 v134, v121, v33
	v_fma_f16 v49, v110, v27, -v49
	v_add_f16_e32 v121, v136, v133
	v_fmac_f16_e32 v132, v64, v28
	v_fmac_f16_e32 v135, v122, v30
	;; [unrolled: 1-line block ×4, first 2 shown]
	v_add_f16_e32 v50, v54, v103
	v_add_f16_e32 v65, v128, v138
	;; [unrolled: 1-line block ×4, first 2 shown]
	v_fmac_f16_e32 v125, -0.5, v121
	v_add_f16_e32 v121, v111, v49
	v_lshrrev_b32_e32 v131, 16, v111
	v_add_f16_e32 v64, v109, v54
	v_add_f16_e32 v110, v124, v128
	;; [unrolled: 1-line block ×3, first 2 shown]
	v_fmac_f16_e32 v109, -0.5, v50
	v_add_f16_e32 v50, v114, v53
	v_fmac_f16_e32 v124, -0.5, v65
	v_add_f16_e32 v65, v134, v108
	;; [unrolled: 2-line block ×3, first 2 shown]
	v_sub_f16_e32 v49, v49, v55
	v_add_f16_e32 v55, v121, v55
	v_add_f16_e32 v121, v129, v132
	v_fmac_f16_e32 v137, v120, v29
	v_add_f16_e32 v120, v112, v66
	v_fmac_f16_e32 v112, -0.5, v119
	v_add_f16_e32 v119, v126, v134
	v_fmac_f16_e32 v126, -0.5, v65
	;; [unrolled: 2-line block ×3, first 2 shown]
	v_add_f16_e32 v121, v113, v67
	v_sub_f16_e32 v127, v129, v132
	v_lshrrev_b32_e32 v129, 16, v113
	v_sub_f16_e32 v66, v66, v56
	v_add_f16_e32 v56, v120, v56
	v_add_f16_e32 v120, v67, v107
	v_sub_f16_e32 v67, v67, v107
	v_add_f16_e32 v107, v121, v107
	v_add_f16_e32 v121, v137, v135
	v_sub_f16_e32 v53, v53, v130
	v_sub_f16_e32 v54, v54, v103
	v_add_f16_e32 v64, v64, v103
	v_add_f16_e32 v103, v110, v138
	v_fma_f16 v110, -0.5, v122, v111
	v_add_f16_e32 v65, v65, v132
	v_sub_f16_e32 v132, v136, v133
	v_add_f16_e32 v123, v123, v133
	v_add_f16_e32 v133, v129, v137
	v_sub_f16_e32 v136, v137, v135
	v_sub_f16_e32 v134, v134, v108
	;; [unrolled: 1-line block ×3, first 2 shown]
	v_fmac_f16_e32 v129, -0.5, v121
	v_fma_f16 v111, -0.5, v120, v113
	v_fmamk_f16 v121, v53, 0xbaee, v126
	v_fmac_f16_e32 v126, 0x3aee, v53
	v_fmamk_f16 v53, v127, 0x3aee, v110
	v_fmamk_f16 v122, v49, 0xbaee, v131
	v_fmac_f16_e32 v110, 0xbaee, v127
	v_fmac_f16_e32 v131, 0x3aee, v49
	v_pack_b32_f16 v55, v55, v65
	v_add_f16_e32 v108, v119, v108
	v_fmamk_f16 v119, v54, 0xbaee, v124
	v_fmac_f16_e32 v124, 0x3aee, v54
	v_fmamk_f16 v54, v132, 0x3aee, v112
	v_fmamk_f16 v120, v66, 0xbaee, v125
	v_fmac_f16_e32 v112, 0xbaee, v132
	v_fmac_f16_e32 v125, 0x3aee, v66
	v_add_f16_e32 v133, v133, v135
	v_add_f16_e32 v50, v50, v130
	v_fmamk_f16 v113, v128, 0x3aee, v109
	v_fmac_f16_e32 v109, 0xbaee, v128
	v_fmamk_f16 v66, v134, 0x3aee, v114
	v_fmac_f16_e32 v114, 0xbaee, v134
	;; [unrolled: 2-line block ×4, first 2 shown]
	v_pack_b32_f16 v53, v53, v122
	ds_write_b32 v69, v55
	v_pack_b32_f16 v55, v110, v131
	v_pack_b32_f16 v56, v56, v123
	;; [unrolled: 1-line block ×5, first 2 shown]
	v_add_co_ci_u32_e64 v135, null, s3, 0, s0
	v_pack_b32_f16 v65, v107, v133
	v_pack_b32_f16 v50, v50, v108
	;; [unrolled: 1-line block ×8, first 2 shown]
	ds_write_b32 v69, v53 offset:1500
	ds_write_b32 v69, v55 offset:3000
	ds_write_b32 v94, v56
	ds_write_b32 v94, v54 offset:1500
	ds_write_b32 v94, v103 offset:3000
	;; [unrolled: 1-line block ×5, first 2 shown]
	ds_write_b32 v100, v50
	ds_write_b32 v100, v66 offset:1500
	ds_write_b32 v100, v107 offset:3000
	ds_write_b32 v95, v64 offset:9000
	ds_write_b32 v95, v109 offset:10500
	ds_write_b32 v95, v67 offset:12000
	v_add_co_u32 v53, vcc_lo, 0x1000, v117
	v_add_co_ci_u32_e32 v54, vcc_lo, 0, v118, vcc_lo
	v_add_co_u32 v55, vcc_lo, 0x1000, v68
	s_waitcnt lgkmcnt(0)
	s_barrier
	buffer_gl0_inv
	s_clause 0x2
	global_load_dwordx2 v[47:48], v[47:48], off offset:384
	global_load_dwordx2 v[49:50], v[51:52], off offset:384
	;; [unrolled: 1-line block ×3, first 2 shown]
	v_add_co_ci_u32_e32 v56, vcc_lo, 0, v135, vcc_lo
	s_clause 0x1
	global_load_dwordx2 v[53:54], v[53:54], off offset:384
	global_load_dwordx2 v[55:56], v[55:56], off offset:384
	ds_read_b32 v68, v69 offset:12600
	ds_read2_b32 v[64:65], v89 offset0:8 offset1:233
	ds_read2_b32 v[66:67], v86 offset0:10 offset1:235
	;; [unrolled: 1-line block ×5, first 2 shown]
	ds_read2_b32 v[113:114], v69 offset1:225
	ds_read2_b32 v[115:116], v91 offset0:2 offset1:227
	s_load_dwordx2 s[0:1], s[4:5], 0x38
	s_mov_b32 s4, 0xf3de0748
	s_mov_b32 s5, 0x3f33698d
	s_waitcnt lgkmcnt(0)
	v_lshrrev_b32_e32 v103, 16, v68
	v_lshrrev_b32_e32 v122, 16, v64
	;; [unrolled: 1-line block ×13, first 2 shown]
	s_waitcnt vmcnt(3)
	v_mul_f16_sdwa v131, v118, v50 dst_sel:DWORD dst_unused:UNUSED_PAD src0_sel:DWORD src1_sel:WORD_1
	s_waitcnt vmcnt(2)
	v_mul_f16_sdwa v132, v119, v52 dst_sel:DWORD dst_unused:UNUSED_PAD src0_sel:DWORD src1_sel:WORD_1
	v_mul_f16_sdwa v133, v66, v50 dst_sel:DWORD dst_unused:UNUSED_PAD src0_sel:DWORD src1_sel:WORD_1
	;; [unrolled: 1-line block ×4, first 2 shown]
	v_fma_f16 v66, v66, v50, -v131
	s_waitcnt vmcnt(0)
	v_mul_f16_sdwa v131, v122, v55 dst_sel:DWORD dst_unused:UNUSED_PAD src0_sel:DWORD src1_sel:WORD_1
	v_fma_f16 v67, v67, v52, -v132
	v_mul_f16_sdwa v132, v64, v55 dst_sel:DWORD dst_unused:UNUSED_PAD src0_sel:DWORD src1_sel:WORD_1
	v_mul_f16_sdwa v128, v103, v48 dst_sel:DWORD dst_unused:UNUSED_PAD src0_sel:DWORD src1_sel:WORD_1
	;; [unrolled: 1-line block ×3, first 2 shown]
	v_fma_f16 v64, v64, v55, -v131
	v_mul_f16_sdwa v131, v68, v48 dst_sel:DWORD dst_unused:UNUSED_PAD src0_sel:DWORD src1_sel:WORD_1
	v_mul_f16_sdwa v137, v121, v53 dst_sel:DWORD dst_unused:UNUSED_PAD src0_sel:DWORD src1_sel:WORD_1
	v_fmac_f16_e32 v129, v117, v47
	v_mul_f16_sdwa v130, v117, v47 dst_sel:DWORD dst_unused:UNUSED_PAD src0_sel:DWORD src1_sel:WORD_1
	v_mul_f16_sdwa v135, v107, v51 dst_sel:DWORD dst_unused:UNUSED_PAD src0_sel:DWORD src1_sel:WORD_1
	v_fmac_f16_e32 v131, v103, v48
	v_mul_f16_sdwa v103, v125, v49 dst_sel:DWORD dst_unused:UNUSED_PAD src0_sel:DWORD src1_sel:WORD_1
	v_mul_f16_sdwa v138, v108, v53 dst_sel:DWORD dst_unused:UNUSED_PAD src0_sel:DWORD src1_sel:WORD_1
	v_fma_f16 v107, v107, v51, -v136
	v_fma_f16 v108, v108, v53, -v137
	v_mul_f16_sdwa v136, v123, v54 dst_sel:DWORD dst_unused:UNUSED_PAD src0_sel:DWORD src1_sel:WORD_1
	v_mul_f16_sdwa v137, v124, v56 dst_sel:DWORD dst_unused:UNUSED_PAD src0_sel:DWORD src1_sel:WORD_1
	v_fma_f16 v68, v68, v48, -v128
	v_mul_f16_sdwa v128, v112, v49 dst_sel:DWORD dst_unused:UNUSED_PAD src0_sel:DWORD src1_sel:WORD_1
	v_fmac_f16_e32 v134, v119, v52
	v_fma_f16 v103, v112, v49, -v103
	v_add_f16_e32 v119, v129, v131
	v_fma_f16 v65, v65, v47, -v130
	v_mul_f16_sdwa v130, v109, v54 dst_sel:DWORD dst_unused:UNUSED_PAD src0_sel:DWORD src1_sel:WORD_1
	v_fma_f16 v109, v109, v54, -v136
	v_fma_f16 v136, v110, v56, -v137
	v_mul_f16_sdwa v110, v110, v56 dst_sel:DWORD dst_unused:UNUSED_PAD src0_sel:DWORD src1_sel:WORD_1
	v_lshrrev_b32_e32 v137, 16, v113
	v_fmac_f16_e32 v128, v125, v49
	v_fmac_f16_e32 v133, v118, v50
	;; [unrolled: 1-line block ×4, first 2 shown]
	v_add_f16_e32 v120, v126, v129
	v_add_f16_e32 v121, v107, v67
	v_fmac_f16_e32 v126, -0.5, v119
	v_add_f16_e32 v119, v113, v103
	v_fmac_f16_e32 v130, v123, v54
	v_fmac_f16_e32 v132, v122, v55
	;; [unrolled: 1-line block ×3, first 2 shown]
	v_add_f16_e32 v112, v65, v68
	v_add_f16_e32 v122, v135, v134
	;; [unrolled: 1-line block ×3, first 2 shown]
	v_fmac_f16_e32 v114, -0.5, v121
	v_add_f16_e32 v121, v103, v66
	v_sub_f16_e32 v124, v103, v66
	v_add_f16_e32 v103, v128, v133
	v_add_f16_e32 v66, v119, v66
	;; [unrolled: 1-line block ×3, first 2 shown]
	v_lshrrev_b32_e32 v117, 16, v115
	v_add_f16_e32 v118, v111, v65
	v_fmac_f16_e32 v111, -0.5, v112
	v_add_f16_e32 v112, v127, v135
	v_fmac_f16_e32 v127, -0.5, v122
	v_sub_f16_e32 v122, v128, v133
	v_sub_f16_e32 v107, v107, v67
	v_fmac_f16_e32 v137, -0.5, v103
	v_add_f16_e32 v103, v64, v136
	v_add_f16_e32 v119, v119, v133
	;; [unrolled: 1-line block ×5, first 2 shown]
	v_sub_f16_e32 v125, v135, v134
	v_add_f16_e32 v128, v116, v64
	v_add_f16_e32 v112, v112, v134
	v_fmac_f16_e32 v116, -0.5, v103
	v_add_f16_e32 v134, v139, v132
	v_fmac_f16_e32 v139, -0.5, v123
	;; [unrolled: 2-line block ×3, first 2 shown]
	v_add_f16_e32 v123, v115, v108
	v_add_f16_e32 v133, v108, v109
	v_sub_f16_e32 v65, v65, v68
	v_fma_f16 v113, -0.5, v121, v113
	v_sub_f16_e32 v108, v108, v109
	v_add_f16_e32 v109, v123, v109
	v_sub_f16_e32 v123, v138, v130
	v_sub_f16_e32 v64, v64, v136
	v_fma_f16 v115, -0.5, v133, v115
	v_sub_f16_e32 v129, v129, v131
	v_sub_f16_e32 v132, v132, v110
	v_fmamk_f16 v121, v65, 0xbaee, v126
	v_fmac_f16_e32 v126, 0x3aee, v65
	v_fmamk_f16 v65, v125, 0x3aee, v114
	v_fmac_f16_e32 v114, 0xbaee, v125
	;; [unrolled: 2-line block ×5, first 2 shown]
	v_pack_b32_f16 v66, v66, v119
	v_fmamk_f16 v119, v64, 0xbaee, v139
	v_fmac_f16_e32 v139, 0x3aee, v64
	v_fmamk_f16 v64, v123, 0x3aee, v115
	v_fmac_f16_e32 v115, 0xbaee, v123
	v_fmamk_f16 v123, v108, 0xbaee, v117
	v_add_f16_e32 v130, v103, v130
	v_add_f16_e32 v128, v128, v136
	;; [unrolled: 1-line block ×5, first 2 shown]
	v_fmamk_f16 v120, v129, 0x3aee, v111
	v_fmac_f16_e32 v111, 0xbaee, v129
	v_fmac_f16_e32 v117, 0x3aee, v108
	v_pack_b32_f16 v67, v67, v112
	v_fmamk_f16 v112, v132, 0x3aee, v116
	v_fmac_f16_e32 v116, 0xbaee, v132
	v_pack_b32_f16 v107, v107, v122
	v_pack_b32_f16 v113, v113, v137
	;; [unrolled: 1-line block ×4, first 2 shown]
	v_add_nc_u32_e32 v103, 0x2680, v69
	v_pack_b32_f16 v108, v109, v130
	v_pack_b32_f16 v109, v128, v110
	;; [unrolled: 1-line block ×9, first 2 shown]
	ds_write_b32 v69, v107 offset:4500
	ds_write_b32 v69, v113 offset:9000
	ds_write2_b32 v69, v66, v67 offset1:225
	ds_write2_b32 v90, v65, v64 offset0:6 offset1:231
	ds_write2_b32 v103, v111, v115 offset0:11 offset1:236
	;; [unrolled: 1-line block ×3, first 2 shown]
	ds_write_b32 v69, v114 offset:11700
	ds_write_b32 v69, v68 offset:3600
	ds_write2_b32 v89, v112, v116 offset0:8 offset1:233
	ds_write_b32 v69, v110 offset:12600
	s_waitcnt lgkmcnt(0)
	s_barrier
	buffer_gl0_inv
	global_load_dword v68, v[25:26], off offset:1212
	v_add_co_u32 v25, vcc_lo, 0x34bc, v57
	v_add_co_ci_u32_e32 v26, vcc_lo, 0, v58, vcc_lo
	v_add_co_u32 v64, vcc_lo, 0x6000, v57
	v_add_co_ci_u32_e32 v65, vcc_lo, 0, v58, vcc_lo
	s_clause 0x1
	global_load_dword v113, v[25:26], off offset:900
	global_load_dword v114, v[64:65], off offset:1524
	v_add_co_u32 v66, vcc_lo, 0x3800, v57
	v_add_co_ci_u32_e32 v67, vcc_lo, 0, v58, vcc_lo
	v_add_co_u32 v107, vcc_lo, 0x4800, v57
	v_add_co_ci_u32_e32 v108, vcc_lo, 0, v58, vcc_lo
	;; [unrolled: 2-line block ×4, first 2 shown]
	s_clause 0x8
	global_load_dword v115, v[66:67], off offset:1864
	global_load_dword v116, v[107:108], off offset:468
	;; [unrolled: 1-line block ×9, first 2 shown]
	v_add_co_u32 v25, vcc_lo, 0x5800, v57
	v_add_co_ci_u32_e32 v26, vcc_lo, 0, v58, vcc_lo
	s_clause 0x2
	global_load_dword v122, v[109:110], off offset:2020
	global_load_dword v123, v[25:26], off offset:1772
	;; [unrolled: 1-line block ×3, first 2 shown]
	ds_read2_b32 v[25:26], v69 offset1:225
	ds_read_b32 v107, v69 offset:12600
	v_add_nc_u32_e32 v125, 0x1f80, v69
	s_waitcnt lgkmcnt(1)
	v_lshrrev_b32_e32 v57, 16, v25
	v_lshrrev_b32_e32 v108, 16, v26
	s_waitcnt vmcnt(14)
	v_mul_f16_sdwa v58, v25, v68 dst_sel:DWORD dst_unused:UNUSED_PAD src0_sel:DWORD src1_sel:WORD_1
	v_mul_f16_sdwa v64, v57, v68 dst_sel:DWORD dst_unused:UNUSED_PAD src0_sel:DWORD src1_sel:WORD_1
	v_fmac_f16_e32 v58, v57, v68
	v_fma_f16 v25, v25, v68, -v64
	v_add_nc_u32_e32 v68, 0xa80, v69
	s_waitcnt vmcnt(13)
	v_mul_f16_sdwa v109, v108, v113 dst_sel:DWORD dst_unused:UNUSED_PAD src0_sel:DWORD src1_sel:WORD_1
	v_pack_b32_f16 v25, v25, v58
	v_mul_f16_sdwa v110, v26, v113 dst_sel:DWORD dst_unused:UNUSED_PAD src0_sel:DWORD src1_sel:WORD_1
	s_waitcnt vmcnt(12) lgkmcnt(0)
	v_mul_f16_sdwa v127, v107, v114 dst_sel:DWORD dst_unused:UNUSED_PAD src0_sel:DWORD src1_sel:WORD_1
	v_fma_f16 v26, v26, v113, -v109
	ds_write_b32 v69, v25
	ds_read2_b32 v[57:58], v91 offset0:2 offset1:227
	v_lshrrev_b32_e32 v25, 16, v107
	ds_read2_b32 v[64:65], v87 offset0:4 offset1:229
	ds_read2_b32 v[66:67], v90 offset0:6 offset1:231
	v_fmac_f16_e32 v110, v108, v113
	v_add_nc_u32_e32 v113, 0x380, v69
	v_mul_f16_sdwa v126, v25, v114 dst_sel:DWORD dst_unused:UNUSED_PAD src0_sel:DWORD src1_sel:WORD_1
	v_fmac_f16_e32 v127, v25, v114
	v_fma_f16 v107, v107, v114, -v126
	v_pack_b32_f16 v126, v26, v110
	ds_read2_b32 v[25:26], v89 offset0:8 offset1:233
	v_add_nc_u32_e32 v114, 0x1180, v69
	v_pack_b32_f16 v127, v107, v127
	ds_read2_b32 v[107:108], v86 offset0:10 offset1:235
	ds_read2_b32 v[109:110], v88 offset0:12 offset1:237
	s_waitcnt lgkmcnt(5)
	v_lshrrev_b32_e32 v128, 16, v58
	v_lshrrev_b32_e32 v129, 16, v57
	s_waitcnt vmcnt(11)
	v_mul_f16_sdwa v130, v58, v115 dst_sel:DWORD dst_unused:UNUSED_PAD src0_sel:DWORD src1_sel:WORD_1
	s_waitcnt vmcnt(7)
	v_mul_f16_sdwa v132, v57, v119 dst_sel:DWORD dst_unused:UNUSED_PAD src0_sel:DWORD src1_sel:WORD_1
	s_waitcnt lgkmcnt(4)
	v_lshrrev_b32_e32 v134, 16, v65
	s_waitcnt vmcnt(5)
	v_mul_f16_sdwa v135, v65, v111 dst_sel:DWORD dst_unused:UNUSED_PAD src0_sel:DWORD src1_sel:WORD_1
	s_waitcnt lgkmcnt(3)
	v_lshrrev_b32_e32 v136, 16, v66
	v_lshrrev_b32_e32 v137, 16, v67
	v_mul_f16_sdwa v138, v128, v115 dst_sel:DWORD dst_unused:UNUSED_PAD src0_sel:DWORD src1_sel:WORD_1
	v_fmac_f16_e32 v130, v128, v115
	v_mul_f16_sdwa v128, v129, v119 dst_sel:DWORD dst_unused:UNUSED_PAD src0_sel:DWORD src1_sel:WORD_1
	v_fmac_f16_e32 v132, v129, v119
	v_mul_f16_sdwa v129, v66, v116 dst_sel:DWORD dst_unused:UNUSED_PAD src0_sel:DWORD src1_sel:WORD_1
	v_lshrrev_b32_e32 v131, 16, v64
	v_mul_f16_sdwa v133, v64, v120 dst_sel:DWORD dst_unused:UNUSED_PAD src0_sel:DWORD src1_sel:WORD_1
	v_fma_f16 v58, v58, v115, -v138
	s_waitcnt lgkmcnt(2)
	v_lshrrev_b32_e32 v115, 16, v26
	v_fma_f16 v57, v57, v119, -v128
	v_mul_f16_sdwa v128, v67, v117 dst_sel:DWORD dst_unused:UNUSED_PAD src0_sel:DWORD src1_sel:WORD_1
	v_mul_f16_sdwa v138, v134, v111 dst_sel:DWORD dst_unused:UNUSED_PAD src0_sel:DWORD src1_sel:WORD_1
	v_fmac_f16_e32 v135, v134, v111
	v_mul_f16_sdwa v134, v136, v116 dst_sel:DWORD dst_unused:UNUSED_PAD src0_sel:DWORD src1_sel:WORD_1
	v_fmac_f16_e32 v129, v136, v116
	v_mul_f16_sdwa v136, v137, v117 dst_sel:DWORD dst_unused:UNUSED_PAD src0_sel:DWORD src1_sel:WORD_1
	v_mul_f16_sdwa v119, v131, v120 dst_sel:DWORD dst_unused:UNUSED_PAD src0_sel:DWORD src1_sel:WORD_1
	v_fmac_f16_e32 v133, v131, v120
	s_waitcnt vmcnt(4)
	v_mul_f16_sdwa v131, v26, v112 dst_sel:DWORD dst_unused:UNUSED_PAD src0_sel:DWORD src1_sel:WORD_1
	v_fmac_f16_e32 v128, v137, v117
	v_fma_f16 v67, v67, v117, -v136
	v_mul_f16_sdwa v117, v115, v112 dst_sel:DWORD dst_unused:UNUSED_PAD src0_sel:DWORD src1_sel:WORD_1
	v_fma_f16 v66, v66, v116, -v134
	s_waitcnt lgkmcnt(1)
	v_lshrrev_b32_e32 v116, 16, v107
	s_waitcnt vmcnt(2)
	v_mul_f16_sdwa v134, v107, v122 dst_sel:DWORD dst_unused:UNUSED_PAD src0_sel:DWORD src1_sel:WORD_1
	v_fma_f16 v64, v64, v120, -v119
	v_lshrrev_b32_e32 v119, 16, v25
	v_fma_f16 v65, v65, v111, -v138
	v_mul_f16_sdwa v120, v25, v118 dst_sel:DWORD dst_unused:UNUSED_PAD src0_sel:DWORD src1_sel:WORD_1
	s_waitcnt lgkmcnt(0)
	v_lshrrev_b32_e32 v138, 16, v110
	v_lshrrev_b32_e32 v111, 16, v109
	s_waitcnt vmcnt(1)
	v_mul_f16_sdwa v136, v109, v123 dst_sel:DWORD dst_unused:UNUSED_PAD src0_sel:DWORD src1_sel:WORD_1
	v_fmac_f16_e32 v131, v115, v112
	v_lshrrev_b32_e32 v115, 16, v108
	v_fma_f16 v26, v26, v112, -v117
	s_waitcnt vmcnt(0)
	v_mul_f16_sdwa v112, v108, v124 dst_sel:DWORD dst_unused:UNUSED_PAD src0_sel:DWORD src1_sel:WORD_1
	v_fmac_f16_e32 v134, v116, v122
	v_mul_f16_sdwa v116, v116, v122 dst_sel:DWORD dst_unused:UNUSED_PAD src0_sel:DWORD src1_sel:WORD_1
	v_mul_f16_sdwa v137, v110, v121 dst_sel:DWORD dst_unused:UNUSED_PAD src0_sel:DWORD src1_sel:WORD_1
	v_fmac_f16_e32 v120, v119, v118
	v_mul_f16_sdwa v117, v119, v118 dst_sel:DWORD dst_unused:UNUSED_PAD src0_sel:DWORD src1_sel:WORD_1
	v_mul_f16_sdwa v119, v138, v121 dst_sel:DWORD dst_unused:UNUSED_PAD src0_sel:DWORD src1_sel:WORD_1
	v_fmac_f16_e32 v136, v111, v123
	v_mul_f16_sdwa v111, v111, v123 dst_sel:DWORD dst_unused:UNUSED_PAD src0_sel:DWORD src1_sel:WORD_1
	v_fmac_f16_e32 v112, v115, v124
	v_mul_f16_sdwa v115, v115, v124 dst_sel:DWORD dst_unused:UNUSED_PAD src0_sel:DWORD src1_sel:WORD_1
	v_fma_f16 v107, v107, v122, -v116
	v_fmac_f16_e32 v137, v138, v121
	v_fma_f16 v25, v25, v118, -v117
	v_fma_f16 v110, v110, v121, -v119
	;; [unrolled: 1-line block ×4, first 2 shown]
	v_pack_b32_f16 v58, v58, v130
	v_pack_b32_f16 v64, v64, v133
	v_pack_b32_f16 v26, v26, v131
	v_pack_b32_f16 v107, v107, v134
	v_pack_b32_f16 v57, v57, v132
	v_pack_b32_f16 v66, v66, v129
	v_pack_b32_f16 v65, v65, v135
	v_pack_b32_f16 v67, v67, v128
	v_pack_b32_f16 v25, v25, v120
	v_pack_b32_f16 v110, v110, v137
	v_pack_b32_f16 v109, v109, v136
	v_pack_b32_f16 v108, v108, v112
	ds_write2_b32 v68, v58, v64 offset0:3 offset1:228
	ds_write2_b32 v125, v26, v107 offset0:9 offset1:234
	;; [unrolled: 1-line block ×7, first 2 shown]
	s_waitcnt lgkmcnt(0)
	s_barrier
	buffer_gl0_inv
	ds_read2_b32 v[25:26], v90 offset0:6 offset1:231
	ds_read2_b32 v[57:58], v91 offset0:2 offset1:227
	;; [unrolled: 1-line block ×4, first 2 shown]
	ds_read2_b32 v[66:67], v69 offset1:225
	ds_read2_b32 v[107:108], v86 offset0:10 offset1:235
	ds_read2_b32 v[109:110], v87 offset0:4 offset1:229
	ds_read_b32 v68, v69 offset:12600
	s_waitcnt lgkmcnt(0)
	s_barrier
	buffer_gl0_inv
	v_pk_add_f16 v111, v58, v25 neg_lo:[0,1] neg_hi:[0,1]
	v_pk_add_f16 v114, v58, v62 neg_lo:[0,1] neg_hi:[0,1]
	;; [unrolled: 1-line block ×3, first 2 shown]
	v_pk_add_f16 v113, v25, v65
	v_pk_add_f16 v115, v25, v65 neg_lo:[0,1] neg_hi:[0,1]
	v_pk_add_f16 v116, v66, v58
	v_pk_add_f16 v117, v58, v62
	;; [unrolled: 1-line block ×3, first 2 shown]
	v_pk_add_f16 v124, v109, v63 neg_lo:[0,1] neg_hi:[0,1]
	v_pk_add_f16 v58, v25, v58 neg_lo:[0,1] neg_hi:[0,1]
	;; [unrolled: 1-line block ×3, first 2 shown]
	v_pk_add_f16 v120, v109, v63
	v_pk_add_f16 v121, v67, v109
	v_pk_add_f16 v122, v109, v26 neg_lo:[0,1] neg_hi:[0,1]
	v_pk_add_f16 v123, v63, v107 neg_lo:[0,1] neg_hi:[0,1]
	;; [unrolled: 1-line block ×3, first 2 shown]
	v_pk_add_f16 v127, v64, v108
	v_pk_add_f16 v128, v110, v68
	;; [unrolled: 1-line block ×3, first 2 shown]
	v_pk_add_f16 v130, v110, v68 neg_lo:[0,1] neg_hi:[0,1]
	v_pk_add_f16 v132, v64, v108 neg_lo:[0,1] neg_hi:[0,1]
	v_pk_fma_f16 v113, v113, 0.5, v66 op_sel_hi:[1,0,1] neg_lo:[1,0,0] neg_hi:[1,0,0]
	v_pk_add_f16 v111, v111, v112
	v_pk_mul_f16 v112, 0x3b9c, v114 op_sel_hi:[0,1]
	v_pk_fma_f16 v66, v117, 0.5, v66 op_sel_hi:[1,0,1] neg_lo:[1,0,0] neg_hi:[1,0,0]
	v_pk_add_f16 v25, v116, v25
	v_pk_mul_f16 v116, 0x38b4, v115 op_sel_hi:[0,1]
	v_pk_mul_f16 v115, 0x3b9c, v115 op_sel_hi:[0,1]
	v_pk_fma_f16 v117, v119, 0.5, v67 op_sel_hi:[1,0,1] neg_lo:[1,0,0] neg_hi:[1,0,0]
	v_pk_mul_f16 v119, 0x3b9c, v124 op_sel_hi:[0,1]
	v_pk_add_f16 v109, v26, v109 neg_lo:[0,1] neg_hi:[0,1]
	v_pk_add_f16 v131, v110, v64 neg_lo:[0,1] neg_hi:[0,1]
	;; [unrolled: 1-line block ×3, first 2 shown]
	v_pk_fma_f16 v67, v120, 0.5, v67 op_sel_hi:[1,0,1] neg_lo:[1,0,0] neg_hi:[1,0,0]
	v_pk_add_f16 v26, v121, v26
	v_pk_add_f16 v58, v58, v118
	;; [unrolled: 1-line block ×3, first 2 shown]
	v_pk_mul_f16 v121, 0x3b9c, v125 op_sel_hi:[0,1]
	v_pk_mul_f16 v122, 0x38b4, v124 op_sel_hi:[0,1]
	v_pk_fma_f16 v123, v127, 0.5, v57 op_sel_hi:[1,0,1] neg_lo:[1,0,0] neg_hi:[1,0,0]
	v_pk_fma_f16 v57, v128, 0.5, v57 op_sel_hi:[1,0,1] neg_lo:[1,0,0] neg_hi:[1,0,0]
	v_pk_add_f16 v64, v129, v64
	v_pk_mul_f16 v124, 0x3b9c, v130 op_sel_hi:[0,1]
	v_pk_mul_f16 v127, 0x3b9c, v132 op_sel_hi:[0,1]
	v_pk_add_f16 v129, v113, v112 op_sel:[0,1] op_sel_hi:[1,0] neg_lo:[0,1] neg_hi:[0,1]
	v_pk_add_f16 v112, v113, v112 op_sel:[0,1] op_sel_hi:[1,0]
	v_pk_mul_f16 v114, 0x38b4, v114 op_sel_hi:[0,1]
	v_pk_add_f16 v25, v25, v65
	v_pk_add_f16 v65, v66, v115 op_sel:[0,1] op_sel_hi:[1,0]
	v_pk_add_f16 v66, v66, v115 op_sel:[0,1] op_sel_hi:[1,0] neg_lo:[0,1] neg_hi:[0,1]
	v_pk_mul_f16 v120, 0x38b4, v125 op_sel_hi:[0,1]
	v_pk_add_f16 v113, v117, v119 op_sel:[0,1] op_sel_hi:[1,0] neg_lo:[0,1] neg_hi:[0,1]
	v_pk_add_f16 v115, v117, v119 op_sel:[0,1] op_sel_hi:[1,0]
	v_pk_add_f16 v126, v107, v63 neg_lo:[0,1] neg_hi:[0,1]
	v_pk_add_f16 v133, v68, v108 neg_lo:[0,1] neg_hi:[0,1]
	;; [unrolled: 1-line block ×3, first 2 shown]
	v_pk_mul_f16 v125, 0x38b4, v132 op_sel_hi:[0,1]
	v_pk_mul_f16 v128, 0x38b4, v130 op_sel_hi:[0,1]
	v_pk_add_f16 v26, v26, v107
	v_pk_add_f16 v107, v67, v121 op_sel:[0,1] op_sel_hi:[1,0]
	v_pk_add_f16 v67, v67, v121 op_sel:[0,1] op_sel_hi:[1,0] neg_lo:[0,1] neg_hi:[0,1]
	v_pk_add_f16 v117, v123, v124 op_sel:[0,1] op_sel_hi:[1,0] neg_lo:[0,1] neg_hi:[0,1]
	v_pk_add_f16 v119, v123, v124 op_sel:[0,1] op_sel_hi:[1,0]
	v_pk_add_f16 v64, v64, v108
	v_pk_add_f16 v108, v57, v127 op_sel:[0,1] op_sel_hi:[1,0]
	v_pk_add_f16 v57, v57, v127 op_sel:[0,1] op_sel_hi:[1,0] neg_lo:[0,1] neg_hi:[0,1]
	v_pk_add_f16 v121, v129, v116 op_sel:[0,1] op_sel_hi:[1,0] neg_lo:[0,1] neg_hi:[0,1]
	v_pk_add_f16 v112, v112, v116 op_sel:[0,1] op_sel_hi:[1,0]
	v_pk_add_f16 v25, v25, v62
	v_pk_add_f16 v62, v65, v114 op_sel:[0,1] op_sel_hi:[1,0] neg_lo:[0,1] neg_hi:[0,1]
	v_pk_add_f16 v65, v66, v114 op_sel:[0,1] op_sel_hi:[1,0]
	v_pk_add_f16 v66, v113, v120 op_sel:[0,1] op_sel_hi:[1,0] neg_lo:[0,1] neg_hi:[0,1]
	v_pk_add_f16 v113, v115, v120 op_sel:[0,1] op_sel_hi:[1,0]
	v_pk_add_f16 v26, v26, v63
	v_pk_add_f16 v63, v107, v122 op_sel:[0,1] op_sel_hi:[1,0] neg_lo:[0,1] neg_hi:[0,1]
	v_pk_add_f16 v67, v67, v122 op_sel:[0,1] op_sel_hi:[1,0]
	;; [unrolled: 5-line block ×3, first 2 shown]
	v_bfi_b32 v108, 0xffff, v121, v112
	v_bfi_b32 v115, 0xffff, v62, v65
	;; [unrolled: 1-line block ×5, first 2 shown]
	v_pk_add_f16 v109, v109, v126
	v_pk_add_f16 v126, v131, v133
	;; [unrolled: 1-line block ×3, first 2 shown]
	v_bfi_b32 v116, 0xffff, v63, v67
	v_bfi_b32 v63, 0xffff, v67, v63
	;; [unrolled: 1-line block ×7, first 2 shown]
	v_pk_fma_f16 v107, 0x34f2, v111, v108 op_sel_hi:[0,1,1]
	v_pk_fma_f16 v108, 0x34f2, v58, v115 op_sel_hi:[0,1,1]
	;; [unrolled: 1-line block ×12, first 2 shown]
	ds_write2_b32 v59, v25, v107 offset1:1
	ds_write2_b32 v59, v108, v58 offset0:2 offset1:3
	ds_write_b32 v59, v62 offset:16
	ds_write2_b32 v60, v26, v65 offset1:1
	ds_write2_b32 v60, v111, v63 offset0:2 offset1:3
	ds_write_b32 v60, v66 offset:16
	ds_write2_b32 v61, v64, v67 offset1:1
	ds_write2_b32 v61, v109, v57 offset0:2 offset1:3
	ds_write_b32 v61, v68 offset:16
	s_waitcnt lgkmcnt(0)
	s_barrier
	buffer_gl0_inv
	ds_read2_b32 v[57:58], v87 offset0:4 offset1:229
	ds_read2_b32 v[59:60], v90 offset0:6 offset1:231
	;; [unrolled: 1-line block ×4, first 2 shown]
	ds_read_b32 v107, v69 offset:12600
	ds_read2_b32 v[65:66], v89 offset0:8 offset1:233
	ds_read2_b32 v[25:26], v91 offset0:2 offset1:227
	ds_read2_b32 v[67:68], v69 offset1:225
	s_waitcnt lgkmcnt(0)
	s_barrier
	buffer_gl0_inv
	v_lshrrev_b32_e32 v108, 16, v57
	v_mul_f16_sdwa v109, v20, v57 dst_sel:DWORD dst_unused:UNUSED_PAD src0_sel:WORD_1 src1_sel:DWORD
	v_lshrrev_b32_e32 v110, 16, v60
	v_mul_f16_sdwa v111, v21, v60 dst_sel:DWORD dst_unused:UNUSED_PAD src0_sel:WORD_1 src1_sel:DWORD
	v_lshrrev_b32_e32 v112, 16, v61
	v_mul_f16_sdwa v113, v22, v61 dst_sel:DWORD dst_unused:UNUSED_PAD src0_sel:WORD_1 src1_sel:DWORD
	v_lshrrev_b32_e32 v114, 16, v64
	v_mul_f16_sdwa v115, v23, v64 dst_sel:DWORD dst_unused:UNUSED_PAD src0_sel:WORD_1 src1_sel:DWORD
	v_lshrrev_b32_e32 v116, 16, v58
	v_mul_f16_sdwa v117, v16, v58 dst_sel:DWORD dst_unused:UNUSED_PAD src0_sel:WORD_1 src1_sel:DWORD
	v_lshrrev_b32_e32 v118, 16, v62
	v_mul_f16_sdwa v119, v18, v62 dst_sel:DWORD dst_unused:UNUSED_PAD src0_sel:WORD_1 src1_sel:DWORD
	v_lshrrev_b32_e32 v120, 16, v107
	v_mul_f16_sdwa v121, v19, v107 dst_sel:DWORD dst_unused:UNUSED_PAD src0_sel:WORD_1 src1_sel:DWORD
	v_lshrrev_b32_e32 v122, 16, v65
	v_mul_f16_sdwa v123, v17, v65 dst_sel:DWORD dst_unused:UNUSED_PAD src0_sel:WORD_1 src1_sel:DWORD
	v_lshrrev_b32_e32 v124, 16, v59
	v_mul_f16_sdwa v125, v13, v59 dst_sel:DWORD dst_unused:UNUSED_PAD src0_sel:WORD_1 src1_sel:DWORD
	v_lshrrev_b32_e32 v126, 16, v66
	v_mul_f16_sdwa v127, v14, v66 dst_sel:DWORD dst_unused:UNUSED_PAD src0_sel:WORD_1 src1_sel:DWORD
	v_lshrrev_b32_e32 v128, 16, v63
	v_mul_f16_sdwa v129, v15, v63 dst_sel:DWORD dst_unused:UNUSED_PAD src0_sel:WORD_1 src1_sel:DWORD
	v_lshrrev_b32_e32 v130, 16, v26
	v_mul_f16_sdwa v131, v12, v26 dst_sel:DWORD dst_unused:UNUSED_PAD src0_sel:WORD_1 src1_sel:DWORD
	v_lshrrev_b32_e32 v134, 16, v67
	v_fma_f16 v109, v20, v108, -v109
	v_mul_f16_sdwa v108, v20, v108 dst_sel:DWORD dst_unused:UNUSED_PAD src0_sel:WORD_1 src1_sel:DWORD
	v_fma_f16 v111, v21, v110, -v111
	v_mul_f16_sdwa v110, v21, v110 dst_sel:DWORD dst_unused:UNUSED_PAD src0_sel:WORD_1 src1_sel:DWORD
	;; [unrolled: 2-line block ×4, first 2 shown]
	v_mul_f16_sdwa v135, v16, v116 dst_sel:DWORD dst_unused:UNUSED_PAD src0_sel:WORD_1 src1_sel:DWORD
	v_fma_f16 v116, v16, v116, -v117
	v_mul_f16_sdwa v117, v18, v118 dst_sel:DWORD dst_unused:UNUSED_PAD src0_sel:WORD_1 src1_sel:DWORD
	v_fma_f16 v118, v18, v118, -v119
	v_fma_f16 v119, v19, v120, -v121
	v_mul_f16_sdwa v120, v19, v120 dst_sel:DWORD dst_unused:UNUSED_PAD src0_sel:WORD_1 src1_sel:DWORD
	v_fma_f16 v121, v17, v122, -v123
	v_mul_f16_sdwa v122, v17, v122 dst_sel:DWORD dst_unused:UNUSED_PAD src0_sel:WORD_1 src1_sel:DWORD
	v_mul_f16_sdwa v123, v13, v124 dst_sel:DWORD dst_unused:UNUSED_PAD src0_sel:WORD_1 src1_sel:DWORD
	v_fma_f16 v124, v13, v124, -v125
	v_mul_f16_sdwa v125, v14, v126 dst_sel:DWORD dst_unused:UNUSED_PAD src0_sel:WORD_1 src1_sel:DWORD
	v_fma_f16 v126, v14, v126, -v127
	;; [unrolled: 2-line block ×3, first 2 shown]
	v_fma_f16 v129, v12, v130, -v131
	v_mul_f16_sdwa v130, v12, v130 dst_sel:DWORD dst_unused:UNUSED_PAD src0_sel:WORD_1 src1_sel:DWORD
	v_lshrrev_b32_e32 v133, 16, v68
	v_lshrrev_b32_e32 v132, 16, v25
	v_fmac_f16_e32 v108, v20, v57
	v_fmac_f16_e32 v110, v21, v60
	;; [unrolled: 1-line block ×11, first 2 shown]
	v_add_f16_e32 v12, v121, v118
	v_add_f16_e32 v13, v116, v119
	v_sub_f16_e32 v15, v121, v116
	v_sub_f16_e32 v16, v118, v119
	v_add_f16_e32 v17, v111, v113
	v_add_f16_e32 v18, v109, v115
	v_sub_f16_e32 v20, v111, v109
	v_sub_f16_e32 v21, v113, v115
	;; [unrolled: 1-line block ×4, first 2 shown]
	v_add_f16_e32 v26, v134, v129
	v_add_f16_e32 v57, v124, v126
	v_sub_f16_e32 v58, v124, v129
	v_add_f16_e32 v59, v129, v128
	v_sub_f16_e32 v60, v126, v128
	v_sub_f16_e32 v61, v109, v111
	;; [unrolled: 1-line block ×5, first 2 shown]
	v_fmac_f16_e32 v125, v14, v66
	v_add_f16_e32 v19, v133, v109
	v_add_f16_e32 v14, v132, v116
	v_fma_f16 v12, -0.5, v12, v132
	v_fmac_f16_e32 v132, -0.5, v13
	v_add_f16_e32 v13, v15, v16
	v_fma_f16 v16, -0.5, v17, v133
	v_fmac_f16_e32 v133, -0.5, v18
	v_add_f16_e32 v18, v20, v21
	v_add_f16_e32 v21, v22, v23
	v_sub_f16_e32 v22, v122, v135
	v_fma_f16 v23, -0.5, v57, v134
	v_fmac_f16_e32 v134, -0.5, v59
	v_sub_f16_e32 v57, v117, v120
	v_add_f16_e32 v58, v58, v60
	v_add_f16_e32 v59, v110, v112
	;; [unrolled: 1-line block ×5, first 2 shown]
	v_sub_f16_e32 v63, v110, v108
	v_sub_f16_e32 v64, v112, v114
	v_add_f16_e32 v26, v26, v124
	v_sub_f16_e32 v65, v124, v126
	v_sub_f16_e32 v66, v111, v113
	;; [unrolled: 1-line block ×3, first 2 shown]
	v_add_f16_e32 v19, v19, v111
	v_sub_f16_e32 v111, v125, v127
	v_add_f16_e32 v15, v122, v117
	v_add_f16_e32 v17, v135, v120
	v_sub_f16_e32 v107, v121, v118
	v_add_f16_e32 v131, v68, v108
	v_sub_f16_e32 v136, v130, v123
	v_sub_f16_e32 v137, v127, v125
	v_add_f16_e32 v14, v14, v121
	v_sub_f16_e32 v121, v108, v110
	v_add_f16_e32 v22, v22, v57
	v_sub_f16_e32 v57, v135, v122
	v_fma_f16 v59, -0.5, v59, v68
	v_fmac_f16_e32 v68, -0.5, v61
	v_sub_f16_e32 v61, v120, v117
	v_add_f16_e32 v63, v63, v64
	v_add_f16_e32 v64, v67, v130
	;; [unrolled: 1-line block ×4, first 2 shown]
	v_sub_f16_e32 v108, v108, v114
	v_add_f16_e32 v111, v124, v111
	v_sub_f16_e32 v124, v130, v127
	v_add_f16_e32 v130, v130, v127
	v_add_f16_e32 v20, v25, v135
	v_fma_f16 v15, -0.5, v15, v25
	v_fmac_f16_e32 v25, -0.5, v17
	v_sub_f16_e32 v17, v114, v112
	v_add_f16_e32 v19, v19, v113
	v_sub_f16_e32 v113, v110, v112
	v_sub_f16_e32 v129, v129, v128
	v_add_f16_e32 v136, v136, v137
	v_sub_f16_e32 v137, v123, v125
	v_add_f16_e32 v57, v57, v61
	v_add_f16_e32 v61, v64, v123
	v_fmamk_f16 v123, v108, 0x3b9c, v16
	v_fmac_f16_e32 v16, 0xbb9c, v108
	v_fma_f16 v126, -0.5, v126, v67
	v_fma_f16 v67, -0.5, v130, v67
	v_sub_f16_e32 v109, v109, v115
	v_add_f16_e32 v17, v121, v17
	v_sub_f16_e32 v121, v122, v117
	v_add_f16_e32 v20, v20, v122
	v_fmamk_f16 v122, v113, 0xbb9c, v133
	v_fmac_f16_e32 v133, 0x3b9c, v113
	v_sub_f16_e32 v116, v116, v119
	v_sub_f16_e32 v135, v135, v120
	v_add_f16_e32 v14, v14, v118
	v_add_f16_e32 v110, v131, v110
	v_fmamk_f16 v118, v124, 0x3b9c, v23
	v_fmac_f16_e32 v123, 0x38b4, v113
	v_fmac_f16_e32 v16, 0xb8b4, v113
	v_fmamk_f16 v113, v129, 0xbb9c, v126
	v_fmamk_f16 v64, v137, 0xbb9c, v134
	v_fmac_f16_e32 v134, 0x3b9c, v137
	v_fmac_f16_e32 v23, 0xbb9c, v124
	v_add_f16_e32 v19, v19, v115
	v_fmamk_f16 v115, v65, 0x3b9c, v67
	v_fmac_f16_e32 v67, 0xbb9c, v65
	v_fmac_f16_e32 v126, 0x3b9c, v129
	v_fmamk_f16 v131, v121, 0xbb9c, v132
	v_fmac_f16_e32 v132, 0x3b9c, v121
	v_fmac_f16_e32 v133, 0xb8b4, v108
	;; [unrolled: 1-line block ×3, first 2 shown]
	v_fmamk_f16 v108, v107, 0x3b9c, v25
	v_fmac_f16_e32 v25, 0xbb9c, v107
	v_add_f16_e32 v20, v20, v117
	v_fmamk_f16 v117, v109, 0xbb9c, v59
	v_add_f16_e32 v61, v61, v125
	v_fmamk_f16 v125, v135, 0x3b9c, v12
	v_fmac_f16_e32 v12, 0xbb9c, v135
	v_add_f16_e32 v110, v110, v112
	v_add_f16_e32 v14, v14, v119
	v_fmamk_f16 v112, v66, 0x3b9c, v68
	v_fmac_f16_e32 v68, 0xbb9c, v66
	v_fmac_f16_e32 v59, 0x3b9c, v109
	v_fmamk_f16 v119, v116, 0xbb9c, v15
	v_fmac_f16_e32 v15, 0x3b9c, v116
	v_fmac_f16_e32 v118, 0x38b4, v137
	v_fmac_f16_e32 v113, 0xb8b4, v65
	v_fmac_f16_e32 v64, 0x38b4, v124
	v_fmac_f16_e32 v134, 0xb8b4, v124
	v_fmac_f16_e32 v23, 0xb8b4, v137
	v_fmac_f16_e32 v115, 0xb8b4, v129
	v_fmac_f16_e32 v67, 0x38b4, v129
	v_fmac_f16_e32 v126, 0x38b4, v65
	v_fmac_f16_e32 v132, 0xb8b4, v135
	v_fmac_f16_e32 v25, 0x38b4, v116
	v_fmac_f16_e32 v117, 0xb8b4, v66
	v_fmac_f16_e32 v125, 0x38b4, v121
	v_fmac_f16_e32 v12, 0xb8b4, v121
	v_fmac_f16_e32 v68, 0x38b4, v109
	v_fmac_f16_e32 v112, 0xb8b4, v109
	v_fmac_f16_e32 v59, 0x38b4, v66
	v_fmac_f16_e32 v119, 0xb8b4, v107
	v_fmac_f16_e32 v15, 0x38b4, v107
	v_add_f16_e32 v26, v26, v128
	v_fmac_f16_e32 v131, 0x38b4, v135
	v_add_f16_e32 v61, v61, v127
	v_fmac_f16_e32 v118, 0x34f2, v21
	v_fmac_f16_e32 v108, 0xb8b4, v116
	;; [unrolled: 1-line block ×6, first 2 shown]
	v_add_f16_e32 v21, v110, v114
	v_fmac_f16_e32 v115, 0x34f2, v111
	v_fmac_f16_e32 v67, 0x34f2, v111
	;; [unrolled: 1-line block ×10, first 2 shown]
	v_add_f16_e32 v18, v20, v120
	v_fmac_f16_e32 v125, 0x34f2, v62
	v_fmac_f16_e32 v12, 0x34f2, v62
	;; [unrolled: 1-line block ×8, first 2 shown]
	v_pack_b32_f16 v13, v61, v26
	v_fmac_f16_e32 v108, 0x34f2, v22
	v_pack_b32_f16 v20, v113, v118
	v_pack_b32_f16 v19, v21, v19
	v_pack_b32_f16 v21, v115, v64
	v_pack_b32_f16 v22, v67, v134
	v_pack_b32_f16 v23, v126, v23
	v_pack_b32_f16 v17, v25, v132
	v_pack_b32_f16 v25, v117, v123
	v_pack_b32_f16 v14, v18, v14
	v_pack_b32_f16 v18, v68, v133
	v_pack_b32_f16 v26, v112, v122
	v_pack_b32_f16 v16, v59, v16
	v_pack_b32_f16 v57, v119, v125
	v_pack_b32_f16 v12, v15, v12
	v_pack_b32_f16 v58, v108, v131
	ds_write2_b32 v104, v13, v20 offset1:5
	ds_write2_b32 v104, v21, v22 offset0:10 offset1:15
	ds_write_b32 v104, v23 offset:80
	ds_write2_b32 v106, v19, v25 offset1:5
	ds_write2_b32 v106, v26, v18 offset0:10 offset1:15
	ds_write_b32 v106, v16 offset:80
	;; [unrolled: 3-line block ×3, first 2 shown]
	s_waitcnt lgkmcnt(0)
	s_barrier
	buffer_gl0_inv
	ds_read2_b32 v[14:15], v87 offset0:4 offset1:229
	ds_read2_b32 v[16:17], v90 offset0:6 offset1:231
	;; [unrolled: 1-line block ×4, first 2 shown]
	ds_read_b32 v57, v69 offset:12600
	ds_read2_b32 v[22:23], v89 offset0:8 offset1:233
	ds_read2_b32 v[12:13], v91 offset0:2 offset1:227
	ds_read2_b32 v[25:26], v69 offset1:225
	s_waitcnt lgkmcnt(0)
	s_barrier
	buffer_gl0_inv
	v_lshrrev_b32_e32 v58, 16, v14
	v_mul_f16_sdwa v59, v8, v14 dst_sel:DWORD dst_unused:UNUSED_PAD src0_sel:WORD_1 src1_sel:DWORD
	v_lshrrev_b32_e32 v60, 16, v17
	v_mul_f16_sdwa v61, v9, v17 dst_sel:DWORD dst_unused:UNUSED_PAD src0_sel:WORD_1 src1_sel:DWORD
	;; [unrolled: 2-line block ×12, first 2 shown]
	v_lshrrev_b32_e32 v119, 16, v25
	v_fma_f16 v59, v8, v58, -v59
	v_mul_f16_sdwa v58, v8, v58 dst_sel:DWORD dst_unused:UNUSED_PAD src0_sel:WORD_1 src1_sel:DWORD
	v_fma_f16 v61, v9, v60, -v61
	v_mul_f16_sdwa v60, v9, v60 dst_sel:DWORD dst_unused:UNUSED_PAD src0_sel:WORD_1 src1_sel:DWORD
	;; [unrolled: 2-line block ×4, first 2 shown]
	v_mul_f16_sdwa v120, v4, v66 dst_sel:DWORD dst_unused:UNUSED_PAD src0_sel:WORD_1 src1_sel:DWORD
	v_mul_f16_sdwa v121, v6, v68 dst_sel:DWORD dst_unused:UNUSED_PAD src0_sel:WORD_1 src1_sel:DWORD
	v_fma_f16 v66, v4, v66, -v67
	v_fma_f16 v67, v6, v68, -v104
	;; [unrolled: 1-line block ×3, first 2 shown]
	v_mul_f16_sdwa v104, v7, v105 dst_sel:DWORD dst_unused:UNUSED_PAD src0_sel:WORD_1 src1_sel:DWORD
	v_fma_f16 v105, v5, v107, -v108
	v_mul_f16_sdwa v106, v5, v107 dst_sel:DWORD dst_unused:UNUSED_PAD src0_sel:WORD_1 src1_sel:DWORD
	v_mul_f16_sdwa v107, v1, v109 dst_sel:DWORD dst_unused:UNUSED_PAD src0_sel:WORD_1 src1_sel:DWORD
	;; [unrolled: 1-line block ×4, first 2 shown]
	v_fma_f16 v109, v1, v109, -v110
	v_fma_f16 v110, v2, v111, -v112
	;; [unrolled: 1-line block ×4, first 2 shown]
	v_mul_f16_sdwa v113, v0, v115 dst_sel:DWORD dst_unused:UNUSED_PAD src0_sel:WORD_1 src1_sel:DWORD
	v_lshrrev_b32_e32 v118, 16, v26
	v_fmac_f16_e32 v58, v8, v14
	v_fmac_f16_e32 v60, v9, v17
	;; [unrolled: 1-line block ×10, first 2 shown]
	v_add_f16_e32 v7, v61, v63
	v_add_f16_e32 v8, v59, v65
	v_sub_f16_e32 v10, v61, v59
	v_sub_f16_e32 v11, v63, v65
	v_add_f16_e32 v17, v119, v112
	v_add_f16_e32 v18, v109, v110
	v_sub_f16_e32 v21, v109, v112
	v_add_f16_e32 v22, v112, v111
	v_sub_f16_e32 v23, v110, v111
	v_fmac_f16_e32 v120, v4, v15
	v_add_f16_e32 v9, v118, v59
	v_sub_f16_e32 v14, v59, v65
	v_sub_f16_e32 v15, v112, v109
	v_sub_f16_e32 v16, v111, v110
	v_sub_f16_e32 v57, v59, v61
	v_sub_f16_e32 v59, v65, v63
	v_lshrrev_b32_e32 v117, 16, v12
	v_fmac_f16_e32 v121, v6, v19
	v_add_f16_e32 v0, v105, v67
	v_add_f16_e32 v1, v66, v68
	v_sub_f16_e32 v3, v105, v66
	v_sub_f16_e32 v4, v67, v68
	;; [unrolled: 1-line block ×3, first 2 shown]
	v_fma_f16 v7, -0.5, v7, v118
	v_fmac_f16_e32 v118, -0.5, v8
	v_add_f16_e32 v8, v10, v11
	v_add_f16_e32 v10, v60, v62
	;; [unrolled: 1-line block ×3, first 2 shown]
	v_sub_f16_e32 v126, v60, v58
	v_sub_f16_e32 v127, v62, v64
	v_add_f16_e32 v130, v107, v108
	v_add_f16_e32 v17, v17, v109
	;; [unrolled: 1-line block ×3, first 2 shown]
	v_fma_f16 v18, -0.5, v18, v119
	v_fmac_f16_e32 v119, -0.5, v22
	v_sub_f16_e32 v22, v113, v107
	v_add_f16_e32 v21, v21, v23
	v_sub_f16_e32 v23, v122, v108
	v_add_f16_e32 v15, v15, v16
	v_add_f16_e32 v16, v113, v122
	;; [unrolled: 1-line block ×3, first 2 shown]
	v_sub_f16_e32 v59, v107, v108
	v_add_f16_e32 v2, v117, v66
	v_fma_f16 v0, -0.5, v0, v117
	v_fmac_f16_e32 v117, -0.5, v1
	v_add_f16_e32 v1, v3, v4
	v_add_f16_e32 v3, v106, v121
	;; [unrolled: 1-line block ×3, first 2 shown]
	v_sub_f16_e32 v13, v61, v63
	v_add_f16_e32 v125, v26, v58
	v_add_f16_e32 v9, v9, v61
	v_sub_f16_e32 v61, v113, v122
	v_sub_f16_e32 v6, v66, v68
	;; [unrolled: 1-line block ×5, first 2 shown]
	v_add_f16_e32 v114, v12, v120
	v_sub_f16_e32 v115, v106, v120
	v_sub_f16_e32 v116, v121, v104
	;; [unrolled: 1-line block ×3, first 2 shown]
	v_fma_f16 v10, -0.5, v10, v26
	v_fmac_f16_e32 v26, -0.5, v11
	v_add_f16_e32 v11, v126, v127
	v_fma_f16 v126, -0.5, v130, v25
	v_add_f16_e32 v22, v22, v23
	v_add_f16_e32 v23, v109, v107
	v_sub_f16_e32 v113, v107, v113
	v_fma_f16 v16, -0.5, v16, v25
	v_fmamk_f16 v107, v59, 0xbb9c, v119
	v_fmac_f16_e32 v119, 0x3b9c, v59
	v_sub_f16_e32 v5, v105, v67
	v_sub_f16_e32 v123, v106, v121
	v_fma_f16 v3, -0.5, v3, v12
	v_fmac_f16_e32 v12, -0.5, v4
	v_sub_f16_e32 v129, v58, v64
	v_sub_f16_e32 v58, v58, v60
	v_fmamk_f16 v25, v61, 0x3b9c, v18
	v_fmac_f16_e32 v18, 0xbb9c, v61
	v_add_f16_e32 v60, v125, v60
	v_sub_f16_e32 v124, v120, v104
	v_add_f16_e32 v66, v66, v112
	v_sub_f16_e32 v112, v64, v62
	v_add_f16_e32 v9, v9, v63
	v_add_f16_e32 v2, v2, v105
	v_sub_f16_e32 v105, v108, v122
	v_sub_f16_e32 v120, v120, v106
	v_add_f16_e32 v4, v115, v116
	v_fmamk_f16 v116, v128, 0xbb9c, v118
	v_fmac_f16_e32 v118, 0x3b9c, v128
	v_add_f16_e32 v106, v114, v106
	v_add_f16_e32 v23, v23, v108
	v_fmamk_f16 v108, v19, 0xbb9c, v126
	v_fmac_f16_e32 v107, 0x38b4, v61
	v_fmac_f16_e32 v119, 0xb8b4, v61
	v_fmamk_f16 v61, v20, 0x3b9c, v16
	v_fmac_f16_e32 v16, 0xbb9c, v20
	v_fmamk_f16 v115, v123, 0xbb9c, v117
	v_fmac_f16_e32 v117, 0x3b9c, v123
	v_add_f16_e32 v17, v17, v110
	v_fmamk_f16 v110, v5, 0x3b9c, v12
	v_fmac_f16_e32 v12, 0xbb9c, v5
	v_fmac_f16_e32 v126, 0x3b9c, v19
	v_fmamk_f16 v63, v129, 0x3b9c, v7
	v_fmac_f16_e32 v25, 0x38b4, v59
	v_fmac_f16_e32 v18, 0xb8b4, v59
	v_add_f16_e32 v59, v60, v62
	v_fmamk_f16 v60, v14, 0xbb9c, v10
	v_sub_f16_e32 v131, v104, v121
	v_add_f16_e32 v58, v58, v112
	v_fmac_f16_e32 v7, 0xbb9c, v129
	v_fmamk_f16 v109, v124, 0x3b9c, v0
	v_fmac_f16_e32 v0, 0xbb9c, v124
	v_fmamk_f16 v112, v13, 0x3b9c, v26
	v_fmac_f16_e32 v26, 0xbb9c, v13
	v_add_f16_e32 v9, v9, v65
	v_fmac_f16_e32 v10, 0x3b9c, v14
	v_fmamk_f16 v65, v6, 0xbb9c, v3
	v_fmac_f16_e32 v3, 0x3b9c, v6
	v_add_f16_e32 v2, v2, v67
	v_fmac_f16_e32 v118, 0xb8b4, v129
	v_fmac_f16_e32 v116, 0x38b4, v129
	v_add_f16_e32 v62, v106, v121
	v_fmac_f16_e32 v108, 0xb8b4, v20
	v_add_f16_e32 v105, v113, v105
	v_fmac_f16_e32 v61, 0xb8b4, v19
	v_fmac_f16_e32 v16, 0x38b4, v19
	;; [unrolled: 1-line block ×7, first 2 shown]
	v_add_f16_e32 v67, v120, v131
	v_fmac_f16_e32 v7, 0xb8b4, v128
	v_fmac_f16_e32 v109, 0x38b4, v123
	;; [unrolled: 1-line block ×8, first 2 shown]
	v_add_f16_e32 v17, v17, v111
	v_add_f16_e32 v2, v2, v68
	v_fmac_f16_e32 v115, 0x38b4, v124
	v_fmac_f16_e32 v118, 0x34f2, v8
	v_add_f16_e32 v23, v23, v122
	v_fmac_f16_e32 v25, 0x34f2, v15
	v_fmac_f16_e32 v116, 0x34f2, v8
	;; [unrolled: 3-line block ×3, first 2 shown]
	v_fmac_f16_e32 v107, 0x34f2, v21
	v_fmac_f16_e32 v119, 0x34f2, v21
	v_fmac_f16_e32 v18, 0x34f2, v15
	v_add_f16_e32 v15, v59, v64
	v_fmac_f16_e32 v61, 0x34f2, v105
	v_fmac_f16_e32 v16, 0x34f2, v105
	;; [unrolled: 1-line block ×16, first 2 shown]
	v_pack_b32_f16 v1, v23, v17
	v_pack_b32_f16 v2, v8, v2
	v_fmac_f16_e32 v110, 0x34f2, v4
	v_pack_b32_f16 v8, v108, v25
	v_pack_b32_f16 v5, v15, v9
	;; [unrolled: 1-line block ×13, first 2 shown]
	ds_write2_b32 v93, v1, v8 offset1:25
	ds_write2_b32 v93, v9, v11 offset0:50 offset1:75
	ds_write_b32 v93, v12 offset:400
	ds_write2_b32 v102, v5, v13 offset1:25
	ds_write2_b32 v102, v14, v6 offset0:50 offset1:75
	ds_write_b32 v102, v7 offset:400
	;; [unrolled: 3-line block ×3, first 2 shown]
	s_waitcnt lgkmcnt(0)
	s_barrier
	buffer_gl0_inv
	ds_read_b32 v14, v69 offset:12600
	ds_read2_b32 v[0:1], v89 offset0:8 offset1:233
	ds_read2_b32 v[2:3], v88 offset0:12 offset1:237
	;; [unrolled: 1-line block ×5, first 2 shown]
	ds_read2_b32 v[10:11], v69 offset1:225
	ds_read2_b32 v[12:13], v91 offset0:2 offset1:227
	s_waitcnt lgkmcnt(0)
	s_barrier
	buffer_gl0_inv
	v_lshrrev_b32_e32 v15, 16, v14
	v_mul_f16_sdwa v16, v42, v14 dst_sel:DWORD dst_unused:UNUSED_PAD src0_sel:WORD_1 src1_sel:DWORD
	v_lshrrev_b32_e32 v17, 16, v1
	v_mul_f16_sdwa v18, v41, v1 dst_sel:DWORD dst_unused:UNUSED_PAD src0_sel:WORD_1 src1_sel:DWORD
	;; [unrolled: 2-line block ×10, first 2 shown]
	v_fma_f16 v16, v42, v15, -v16
	v_mul_f16_sdwa v15, v42, v15 dst_sel:DWORD dst_unused:UNUSED_PAD src0_sel:WORD_1 src1_sel:DWORD
	v_fma_f16 v18, v41, v17, -v18
	v_mul_f16_sdwa v17, v41, v17 dst_sel:DWORD dst_unused:UNUSED_PAD src0_sel:WORD_1 src1_sel:DWORD
	v_mul_f16_sdwa v102, v45, v19 dst_sel:DWORD dst_unused:UNUSED_PAD src0_sel:WORD_1 src1_sel:DWORD
	v_fma_f16 v19, v45, v19, -v20
	v_fma_f16 v20, v46, v21, -v22
	v_mul_f16_sdwa v21, v46, v21 dst_sel:DWORD dst_unused:UNUSED_PAD src0_sel:WORD_1 src1_sel:DWORD
	v_mul_f16_sdwa v22, v44, v23 dst_sel:DWORD dst_unused:UNUSED_PAD src0_sel:WORD_1 src1_sel:DWORD
	v_fma_f16 v23, v44, v23, -v25
	v_fma_f16 v25, v43, v26, -v57
	v_mul_f16_sdwa v57, v39, v58 dst_sel:DWORD dst_unused:UNUSED_PAD src0_sel:WORD_1 src1_sel:DWORD
	v_fma_f16 v58, v39, v58, -v59
	v_fma_f16 v59, v40, v60, -v61
	v_mul_f16_sdwa v60, v40, v60 dst_sel:DWORD dst_unused:UNUSED_PAD src0_sel:WORD_1 src1_sel:DWORD
	v_mul_f16_sdwa v61, v38, v62 dst_sel:DWORD dst_unused:UNUSED_PAD src0_sel:WORD_1 src1_sel:DWORD
	v_fma_f16 v62, v38, v62, -v63
	v_fma_f16 v63, v37, v64, -v65
	v_mul_f16_sdwa v64, v37, v64 dst_sel:DWORD dst_unused:UNUSED_PAD src0_sel:WORD_1 src1_sel:DWORD
	v_mul_f16_sdwa v26, v43, v26 dst_sel:DWORD dst_unused:UNUSED_PAD src0_sel:WORD_1 src1_sel:DWORD
	v_lshrrev_b32_e32 v66, 16, v8
	v_lshrrev_b32_e32 v67, 16, v11
	;; [unrolled: 1-line block ×3, first 2 shown]
	v_fmac_f16_e32 v15, v42, v14
	v_fmac_f16_e32 v17, v41, v1
	;; [unrolled: 1-line block ×8, first 2 shown]
	v_add_f16_e32 v0, v18, v16
	v_add_f16_e32 v3, v58, v59
	v_lshrrev_b32_e32 v93, 16, v13
	v_fmac_f16_e32 v22, v44, v2
	v_fmac_f16_e32 v26, v43, v5
	v_add_f16_e32 v6, v63, v62
	v_add_f16_e32 v14, v19, v20
	v_lshrrev_b32_e32 v101, 16, v12
	v_add_f16_e32 v1, v66, v18
	v_add_f16_e32 v4, v67, v58
	v_add_f16_e32 v7, v68, v63
	v_add_f16_e32 v37, v25, v23
	v_fmac_f16_e32 v66, -0.5, v0
	v_add_f16_e32 v0, v17, v15
	v_fmac_f16_e32 v67, -0.5, v3
	v_add_f16_e32 v3, v57, v60
	v_add_f16_e32 v42, v64, v61
	;; [unrolled: 1-line block ×3, first 2 shown]
	v_sub_f16_e32 v2, v18, v16
	v_add_f16_e32 v18, v93, v19
	v_add_f16_e32 v39, v8, v17
	v_sub_f16_e32 v17, v17, v15
	v_add_f16_e32 v40, v11, v57
	v_fmac_f16_e32 v68, -0.5, v6
	v_sub_f16_e32 v6, v64, v61
	v_fmac_f16_e32 v93, -0.5, v14
	v_add_f16_e32 v14, v102, v21
	v_add_f16_e32 v46, v26, v22
	v_sub_f16_e32 v5, v58, v59
	v_sub_f16_e32 v9, v63, v62
	v_add_f16_e32 v38, v101, v25
	v_sub_f16_e32 v41, v57, v60
	v_add_f16_e32 v7, v7, v62
	v_add_f16_e32 v57, v12, v26
	v_fmac_f16_e32 v101, -0.5, v37
	v_sub_f16_e32 v26, v26, v22
	v_add_f16_e32 v1, v1, v16
	v_fmac_f16_e32 v8, -0.5, v0
	v_fmac_f16_e32 v11, -0.5, v3
	v_fma_f16 v10, -0.5, v42, v10
	v_add_f16_e32 v16, v43, v61
	v_sub_f16_e32 v19, v19, v20
	v_sub_f16_e32 v25, v25, v23
	v_add_f16_e32 v4, v4, v59
	v_add_f16_e32 v44, v13, v102
	v_sub_f16_e32 v45, v102, v21
	v_fmamk_f16 v0, v17, 0x3aee, v66
	v_fmac_f16_e32 v66, 0xbaee, v17
	v_fmamk_f16 v17, v6, 0x3aee, v68
	v_fmac_f16_e32 v68, 0xbaee, v6
	v_add_f16_e32 v6, v40, v60
	v_fmac_f16_e32 v13, -0.5, v14
	v_fma_f16 v12, -0.5, v46, v12
	v_add_f16_e32 v18, v18, v20
	v_add_f16_e32 v20, v57, v22
	v_fmamk_f16 v22, v26, 0x3aee, v101
	v_fmac_f16_e32 v101, 0xbaee, v26
	v_fmamk_f16 v26, v2, 0xbaee, v8
	v_fmac_f16_e32 v8, 0x3aee, v2
	;; [unrolled: 2-line block ×3, first 2 shown]
	v_pack_b32_f16 v5, v16, v7
	v_fmamk_f16 v7, v9, 0xbaee, v10
	v_fmac_f16_e32 v10, 0x3aee, v9
	v_fmamk_f16 v3, v41, 0x3aee, v67
	v_fmac_f16_e32 v67, 0xbaee, v41
	v_add_f16_e32 v23, v38, v23
	v_fmamk_f16 v14, v45, 0x3aee, v93
	v_fmac_f16_e32 v93, 0xbaee, v45
	v_add_f16_e32 v15, v39, v15
	v_pack_b32_f16 v4, v6, v4
	v_fmamk_f16 v6, v19, 0xbaee, v13
	v_fmac_f16_e32 v13, 0x3aee, v19
	v_fmamk_f16 v16, v25, 0xbaee, v12
	v_fmac_f16_e32 v12, 0x3aee, v25
	v_add_f16_e32 v21, v44, v21
	v_pack_b32_f16 v7, v7, v17
	v_pack_b32_f16 v10, v10, v68
	;; [unrolled: 1-line block ×13, first 2 shown]
	ds_write2_b32 v92, v5, v7 offset1:125
	ds_write_b32 v92, v10 offset:1000
	ds_write2_b32 v99, v4, v2 offset1:125
	ds_write_b32 v99, v11 offset:1000
	;; [unrolled: 2-line block ×5, first 2 shown]
	s_waitcnt lgkmcnt(0)
	s_barrier
	buffer_gl0_inv
	ds_read2_b32 v[0:1], v89 offset0:8 offset1:233
	ds_read_b32 v14, v69 offset:12600
	ds_read2_b32 v[2:3], v88 offset0:12 offset1:237
	ds_read2_b32 v[4:5], v90 offset0:6 offset1:231
	;; [unrolled: 1-line block ×4, first 2 shown]
	ds_read2_b32 v[10:11], v69 offset1:225
	ds_read2_b32 v[12:13], v91 offset0:2 offset1:227
	s_waitcnt lgkmcnt(0)
	s_barrier
	buffer_gl0_inv
	v_lshrrev_b32_e32 v15, 16, v1
	v_mul_f16_sdwa v16, v35, v1 dst_sel:DWORD dst_unused:UNUSED_PAD src0_sel:WORD_1 src1_sel:DWORD
	v_lshrrev_b32_e32 v17, 16, v14
	v_lshrrev_b32_e32 v18, 16, v0
	v_mul_f16_sdwa v19, v36, v14 dst_sel:DWORD dst_unused:UNUSED_PAD src0_sel:WORD_1 src1_sel:DWORD
	v_mul_f16_sdwa v20, v33, v0 dst_sel:DWORD dst_unused:UNUSED_PAD src0_sel:WORD_1 src1_sel:DWORD
	v_lshrrev_b32_e32 v21, 16, v3
	v_mul_f16_sdwa v22, v34, v3 dst_sel:DWORD dst_unused:UNUSED_PAD src0_sel:WORD_1 src1_sel:DWORD
	v_lshrrev_b32_e32 v23, 16, v2
	;; [unrolled: 2-line block ×7, first 2 shown]
	v_mul_f16_sdwa v37, v29, v5 dst_sel:DWORD dst_unused:UNUSED_PAD src0_sel:WORD_1 src1_sel:DWORD
	v_mul_f16_sdwa v61, v35, v15 dst_sel:DWORD dst_unused:UNUSED_PAD src0_sel:WORD_1 src1_sel:DWORD
	v_fma_f16 v15, v35, v15, -v16
	v_mul_f16_sdwa v16, v36, v17 dst_sel:DWORD dst_unused:UNUSED_PAD src0_sel:WORD_1 src1_sel:DWORD
	v_fma_f16 v17, v36, v17, -v19
	;; [unrolled: 2-line block ×6, first 2 shown]
	v_fma_f16 v39, v32, v40, -v41
	v_mul_f16_sdwa v40, v32, v40 dst_sel:DWORD dst_unused:UNUSED_PAD src0_sel:WORD_1 src1_sel:DWORD
	v_mul_f16_sdwa v41, v28, v42 dst_sel:DWORD dst_unused:UNUSED_PAD src0_sel:WORD_1 src1_sel:DWORD
	v_fma_f16 v42, v28, v42, -v43
	v_fma_f16 v43, v27, v44, -v45
	v_mul_f16_sdwa v44, v27, v44 dst_sel:DWORD dst_unused:UNUSED_PAD src0_sel:WORD_1 src1_sel:DWORD
	v_lshrrev_b32_e32 v58, 16, v12
	v_fma_f16 v37, v29, v25, -v37
	v_mul_f16_sdwa v25, v29, v25 dst_sel:DWORD dst_unused:UNUSED_PAD src0_sel:WORD_1 src1_sel:DWORD
	v_lshrrev_b32_e32 v46, 16, v11
	v_lshrrev_b32_e32 v59, 16, v13
	v_fmac_f16_e32 v19, v33, v0
	v_fmac_f16_e32 v26, v31, v4
	;; [unrolled: 1-line block ×5, first 2 shown]
	v_add_f16_e32 v0, v38, v39
	v_lshrrev_b32_e32 v57, 16, v10
	v_lshrrev_b32_e32 v60, 16, v8
	v_fmac_f16_e32 v61, v35, v1
	v_fmac_f16_e32 v16, v36, v14
	;; [unrolled: 1-line block ×5, first 2 shown]
	v_add_f16_e32 v4, v43, v42
	v_add_f16_e32 v6, v58, v37
	;; [unrolled: 1-line block ×6, first 2 shown]
	v_fmac_f16_e32 v46, -0.5, v0
	v_add_f16_e32 v0, v26, v40
	v_add_f16_e32 v31, v44, v41
	;; [unrolled: 1-line block ×4, first 2 shown]
	v_sub_f16_e32 v26, v26, v40
	v_add_f16_e32 v32, v10, v44
	v_add_f16_e32 v7, v37, v23
	v_sub_f16_e32 v9, v37, v23
	v_add_f16_e32 v28, v60, v15
	v_fmac_f16_e32 v57, -0.5, v4
	v_add_f16_e32 v4, v6, v23
	v_fmac_f16_e32 v59, -0.5, v27
	v_fmac_f16_e32 v60, -0.5, v29
	v_add_f16_e32 v23, v25, v22
	v_add_f16_e32 v27, v19, v20
	;; [unrolled: 1-line block ×3, first 2 shown]
	v_sub_f16_e32 v2, v38, v39
	v_sub_f16_e32 v5, v43, v42
	v_add_f16_e32 v6, v14, v21
	v_sub_f16_e32 v14, v44, v41
	v_fmac_f16_e32 v11, -0.5, v0
	v_fma_f16 v10, -0.5, v31, v10
	v_add_f16_e32 v3, v3, v42
	v_fmamk_f16 v0, v26, 0x3aee, v46
	v_fmac_f16_e32 v46, 0xbaee, v26
	v_add_f16_e32 v26, v32, v41
	v_sub_f16_e32 v18, v18, v21
	v_sub_f16_e32 v15, v15, v17
	v_fmac_f16_e32 v58, -0.5, v7
	v_add_f16_e32 v7, v28, v17
	v_add_f16_e32 v17, v12, v25
	v_sub_f16_e32 v21, v25, v22
	v_add_f16_e32 v25, v13, v19
	v_sub_f16_e32 v19, v19, v20
	;; [unrolled: 2-line block ×3, first 2 shown]
	v_fmac_f16_e32 v13, -0.5, v27
	v_fmac_f16_e32 v8, -0.5, v29
	v_fma_f16 v12, -0.5, v23, v12
	v_fmamk_f16 v31, v14, 0x3aee, v57
	v_fmamk_f16 v23, v2, 0xbaee, v11
	v_fmac_f16_e32 v11, 0x3aee, v2
	v_fmamk_f16 v2, v5, 0xbaee, v10
	v_fmac_f16_e32 v57, 0xbaee, v14
	v_fmac_f16_e32 v10, 0x3aee, v5
	v_pack_b32_f16 v3, v26, v3
	v_add_f16_e32 v1, v1, v39
	v_add_f16_e32 v14, v30, v40
	;; [unrolled: 1-line block ×3, first 2 shown]
	v_fmamk_f16 v22, v21, 0x3aee, v58
	v_fmac_f16_e32 v58, 0xbaee, v21
	v_add_f16_e32 v20, v25, v20
	v_fmamk_f16 v21, v19, 0x3aee, v59
	v_fmac_f16_e32 v59, 0xbaee, v19
	v_add_f16_e32 v16, v28, v16
	v_fmamk_f16 v19, v33, 0x3aee, v60
	v_fmac_f16_e32 v60, 0xbaee, v33
	v_fmamk_f16 v5, v9, 0xbaee, v12
	v_fmac_f16_e32 v12, 0x3aee, v9
	;; [unrolled: 2-line block ×4, first 2 shown]
	v_pack_b32_f16 v2, v2, v31
	ds_write_b32 v69, v3
	v_pack_b32_f16 v3, v10, v57
	v_pack_b32_f16 v1, v14, v1
	;; [unrolled: 1-line block ×13, first 2 shown]
	ds_write_b32 v69, v2 offset:1500
	ds_write_b32 v69, v3 offset:3000
	ds_write_b32 v94, v1
	ds_write_b32 v94, v0 offset:1500
	ds_write_b32 v94, v11 offset:3000
	;; [unrolled: 1-line block ×5, first 2 shown]
	ds_write_b32 v100, v6
	ds_write_b32 v100, v9 offset:1500
	ds_write_b32 v100, v12 offset:3000
	;; [unrolled: 1-line block ×5, first 2 shown]
	s_waitcnt lgkmcnt(0)
	s_barrier
	buffer_gl0_inv
	ds_read2_b32 v[0:1], v69 offset1:225
	ds_read2_b32 v[2:3], v87 offset0:4 offset1:229
	ds_read2_b32 v[4:5], v89 offset0:8 offset1:233
	ds_read_b32 v14, v69 offset:12600
	ds_read2_b32 v[6:7], v88 offset0:12 offset1:237
	ds_read2_b32 v[8:9], v90 offset0:6 offset1:231
	;; [unrolled: 1-line block ×4, first 2 shown]
	s_waitcnt lgkmcnt(7)
	v_lshrrev_b32_e32 v35, 16, v1
	s_waitcnt lgkmcnt(6)
	v_lshrrev_b32_e32 v16, 16, v3
	;; [unrolled: 2-line block ×4, first 2 shown]
	v_mul_f16_sdwa v19, v47, v5 dst_sel:DWORD dst_unused:UNUSED_PAD src0_sel:WORD_1 src1_sel:DWORD
	s_waitcnt lgkmcnt(3)
	v_lshrrev_b32_e32 v20, 16, v6
	v_mul_f16_sdwa v21, v48, v14 dst_sel:DWORD dst_unused:UNUSED_PAD src0_sel:WORD_1 src1_sel:DWORD
	v_lshrrev_b32_e32 v22, 16, v4
	v_lshrrev_b32_e32 v23, 16, v7
	v_mul_f16_sdwa v25, v55, v4 dst_sel:DWORD dst_unused:UNUSED_PAD src0_sel:WORD_1 src1_sel:DWORD
	v_mul_f16_sdwa v26, v56, v7 dst_sel:DWORD dst_unused:UNUSED_PAD src0_sel:WORD_1 src1_sel:DWORD
	s_waitcnt lgkmcnt(2)
	v_lshrrev_b32_e32 v27, 16, v8
	v_lshrrev_b32_e32 v28, 16, v9
	v_mul_f16_sdwa v29, v53, v9 dst_sel:DWORD dst_unused:UNUSED_PAD src0_sel:WORD_1 src1_sel:DWORD
	v_mul_f16_sdwa v30, v54, v6 dst_sel:DWORD dst_unused:UNUSED_PAD src0_sel:WORD_1 src1_sel:DWORD
	s_waitcnt lgkmcnt(1)
	v_lshrrev_b32_e32 v31, 16, v10
	v_lshrrev_b32_e32 v32, 16, v11
	v_mul_f16_sdwa v33, v51, v8 dst_sel:DWORD dst_unused:UNUSED_PAD src0_sel:WORD_1 src1_sel:DWORD
	v_mul_f16_sdwa v34, v52, v11 dst_sel:DWORD dst_unused:UNUSED_PAD src0_sel:WORD_1 src1_sel:DWORD
	;; [unrolled: 1-line block ×4, first 2 shown]
	s_waitcnt lgkmcnt(0)
	v_lshrrev_b32_e32 v38, 16, v12
	v_lshrrev_b32_e32 v39, 16, v13
	v_mul_f16_sdwa v41, v48, v18 dst_sel:DWORD dst_unused:UNUSED_PAD src0_sel:WORD_1 src1_sel:DWORD
	v_fma_f16 v19, v47, v17, -v19
	v_mul_f16_sdwa v17, v47, v17 dst_sel:DWORD dst_unused:UNUSED_PAD src0_sel:WORD_1 src1_sel:DWORD
	v_fma_f16 v18, v48, v18, -v21
	v_mul_f16_sdwa v21, v55, v22 dst_sel:DWORD dst_unused:UNUSED_PAD src0_sel:WORD_1 src1_sel:DWORD
	v_mul_f16_sdwa v42, v56, v23 dst_sel:DWORD dst_unused:UNUSED_PAD src0_sel:WORD_1 src1_sel:DWORD
	v_fma_f16 v22, v55, v22, -v25
	v_mul_f16_sdwa v25, v54, v20 dst_sel:DWORD dst_unused:UNUSED_PAD src0_sel:WORD_1 src1_sel:DWORD
	v_fma_f16 v23, v56, v23, -v26
	;; [unrolled: 2-line block ×5, first 2 shown]
	v_fma_f16 v32, v52, v32, -v34
	v_mul_f16_sdwa v33, v50, v31 dst_sel:DWORD dst_unused:UNUSED_PAD src0_sel:WORD_1 src1_sel:DWORD
	v_fma_f16 v34, v49, v16, -v36
	v_mul_f16_sdwa v16, v49, v16 dst_sel:DWORD dst_unused:UNUSED_PAD src0_sel:WORD_1 src1_sel:DWORD
	v_fma_f16 v31, v50, v31, -v37
	v_lshrrev_b32_e32 v15, 16, v0
	v_lshrrev_b32_e32 v40, 16, v2
	v_fmac_f16_e32 v41, v48, v14
	v_fmac_f16_e32 v17, v47, v5
	;; [unrolled: 1-line block ×7, first 2 shown]
	v_add_f16_e32 v5, v34, v31
	v_add_f16_e32 v6, v35, v27
	;; [unrolled: 1-line block ×5, first 2 shown]
	v_fmac_f16_e32 v21, v55, v4
	v_fmac_f16_e32 v42, v56, v7
	;; [unrolled: 1-line block ×3, first 2 shown]
	v_add_f16_e32 v4, v15, v34
	v_sub_f16_e32 v3, v34, v31
	v_sub_f16_e32 v7, v27, v32
	;; [unrolled: 1-line block ×3, first 2 shown]
	v_add_f16_e32 v11, v28, v20
	v_sub_f16_e32 v27, v22, v23
	v_add_f16_e32 v22, v22, v23
	v_add_f16_e32 v28, v40, v19
	v_sub_f16_e32 v34, v19, v18
	v_add_f16_e32 v19, v19, v18
	v_fmac_f16_e32 v15, -0.5, v5
	v_add_f16_e32 v5, v6, v32
	v_fmac_f16_e32 v35, -0.5, v8
	v_add_f16_e32 v6, v9, v20
	v_add_f16_e32 v8, v14, v23
	;; [unrolled: 1-line block ×3, first 2 shown]
	v_sub_f16_e32 v14, v16, v33
	v_add_f16_e32 v16, v16, v33
	v_fmac_f16_e32 v39, -0.5, v22
	v_fmac_f16_e32 v40, -0.5, v19
	v_add_f16_e32 v19, v29, v30
	v_add_f16_e32 v22, v12, v26
	v_sub_f16_e32 v23, v26, v25
	v_add_f16_e32 v26, v26, v25
	v_add_f16_e32 v32, v17, v41
	;; [unrolled: 1-line block ×3, first 2 shown]
	v_fmac_f16_e32 v38, -0.5, v11
	v_add_f16_e32 v11, v28, v18
	v_add_f16_e32 v18, v1, v29
	v_sub_f16_e32 v20, v29, v30
	v_add_f16_e32 v28, v13, v21
	v_add_f16_e32 v29, v21, v42
	v_sub_f16_e32 v21, v21, v42
	v_add_f16_e32 v31, v2, v17
	v_sub_f16_e32 v17, v17, v41
	v_fma_f16 v0, -0.5, v16, v0
	v_fmac_f16_e32 v1, -0.5, v19
	v_fma_f16 v12, -0.5, v26, v12
	v_fmac_f16_e32 v2, -0.5, v32
	v_add_f16_e32 v9, v9, v33
	v_fmamk_f16 v33, v14, 0x3aee, v15
	v_fmac_f16_e32 v15, 0xbaee, v14
	v_add_f16_e32 v14, v18, v30
	v_fmamk_f16 v18, v20, 0x3aee, v35
	v_fmac_f16_e32 v35, 0xbaee, v20
	v_fmamk_f16 v20, v23, 0x3aee, v38
	v_fmac_f16_e32 v38, 0xbaee, v23
	v_fmac_f16_e32 v13, -0.5, v29
	v_fmamk_f16 v23, v21, 0x3aee, v39
	v_fmac_f16_e32 v39, 0xbaee, v21
	v_add_f16_e32 v21, v31, v41
	v_fmamk_f16 v16, v17, 0x3aee, v40
	v_fmac_f16_e32 v40, 0xbaee, v17
	v_fmamk_f16 v17, v3, 0xbaee, v0
	v_fmac_f16_e32 v0, 0x3aee, v3
	;; [unrolled: 2-line block ×3, first 2 shown]
	v_fmamk_f16 v7, v10, 0xbaee, v12
	v_add_f16_e32 v19, v22, v25
	v_add_f16_e32 v22, v28, v42
	v_fmac_f16_e32 v12, 0x3aee, v10
	v_fmamk_f16 v25, v34, 0xbaee, v2
	v_fmac_f16_e32 v2, 0x3aee, v34
	v_fmamk_f16 v10, v27, 0xbaee, v13
	v_fmac_f16_e32 v13, 0x3aee, v27
	v_pack_b32_f16 v4, v9, v4
	v_pack_b32_f16 v9, v21, v11
	;; [unrolled: 1-line block ×15, first 2 shown]
	ds_write_b32 v69, v11 offset:4500
	ds_write_b32 v69, v0 offset:9000
	ds_write2_b32 v69, v4, v5 offset1:225
	ds_write2_b32 v90, v3, v7 offset0:6 offset1:231
	ds_write2_b32 v103, v1, v12 offset0:11 offset1:236
	;; [unrolled: 1-line block ×3, first 2 shown]
	ds_write_b32 v69, v13 offset:11700
	ds_write_b32 v69, v9 offset:3600
	ds_write2_b32 v89, v10, v14 offset0:8 offset1:233
	ds_write_b32 v69, v2 offset:12600
	s_waitcnt lgkmcnt(0)
	s_barrier
	buffer_gl0_inv
	ds_read2_b32 v[8:9], v69 offset1:225
	ds_read2_b32 v[2:3], v91 offset0:2 offset1:227
	ds_read2_b32 v[4:5], v90 offset0:6 offset1:231
	v_mad_u64_u32 v[6:7], null, s10, v24, 0
	v_mad_u64_u32 v[10:11], null, s8, v82, 0
	v_mov_b32_e32 v0, v7
	v_mov_b32_e32 v7, v11
	s_waitcnt lgkmcnt(2)
	v_lshrrev_b32_e32 v1, 16, v8
	v_mul_f16_sdwa v12, v85, v8 dst_sel:DWORD dst_unused:UNUSED_PAD src0_sel:WORD_1 src1_sel:DWORD
	s_waitcnt lgkmcnt(1)
	v_lshrrev_b32_e32 v13, 16, v3
	v_mul_f16_sdwa v14, v84, v3 dst_sel:DWORD dst_unused:UNUSED_PAD src0_sel:WORD_1 src1_sel:DWORD
	;; [unrolled: 3-line block ×3, first 2 shown]
	v_fma_f16 v12, v85, v1, -v12
	v_mul_f16_sdwa v1, v85, v1 dst_sel:DWORD dst_unused:UNUSED_PAD src0_sel:WORD_1 src1_sel:DWORD
	v_fma_f16 v11, v84, v13, -v14
	v_mul_f16_sdwa v15, v84, v13 dst_sel:DWORD dst_unused:UNUSED_PAD src0_sel:WORD_1 src1_sel:DWORD
	v_fma_f16 v20, v83, v17, -v18
	v_cvt_f32_f16_e32 v12, v12
	v_fmac_f16_e32 v1, v85, v8
	v_cvt_f32_f16_e32 v13, v11
	v_mul_f16_sdwa v8, v83, v17 dst_sel:DWORD dst_unused:UNUSED_PAD src0_sel:WORD_1 src1_sel:DWORD
	v_fmac_f16_e32 v15, v84, v3
	v_cvt_f64_f32_e32 v[11:12], v12
	v_cvt_f32_f16_e32 v1, v1
	v_cvt_f64_f32_e32 v[13:14], v13
	v_fmac_f16_e32 v8, v83, v4
	v_cvt_f32_f16_e32 v19, v15
	v_cvt_f32_f16_e32 v21, v20
	v_cvt_f64_f32_e32 v[3:4], v1
	v_mad_u64_u32 v[15:16], null, s11, v24, v[0:1]
	v_cvt_f32_f16_e32 v8, v8
	v_cvt_f64_f32_e32 v[16:17], v19
	v_cvt_f64_f32_e32 v[21:22], v21
	ds_read2_b32 v[0:1], v89 offset0:8 offset1:233
	v_mad_u64_u32 v[18:19], null, s9, v82, v[7:8]
	v_cvt_f64_f32_e32 v[19:20], v8
	v_mov_b32_e32 v7, v15
	v_mul_f64 v[23:24], v[11:12], s[4:5]
	v_lshlrev_b64 v[6:7], 2, v[6:7]
	v_mul_f64 v[12:13], v[13:14], s[4:5]
	v_mov_b32_e32 v11, v18
	v_mul_f64 v[14:15], v[3:4], s[4:5]
	v_add_co_u32 v3, vcc_lo, s0, v6
	v_add_co_ci_u32_e32 v4, vcc_lo, s1, v7, vcc_lo
	v_mul_f64 v[6:7], v[16:17], s[4:5]
	v_lshlrev_b64 v[10:11], 2, v[10:11]
	s_waitcnt lgkmcnt(0)
	v_lshrrev_b32_e32 v8, 16, v1
	v_mul_f64 v[16:17], v[19:20], s[4:5]
	v_add_co_u32 v3, vcc_lo, v3, v10
	v_add_co_ci_u32_e32 v4, vcc_lo, v4, v11, vcc_lo
	v_and_or_b32 v19, 0x1ff, v24, v23
	v_mul_f64 v[10:11], v[21:22], s[4:5]
	v_and_or_b32 v12, 0x1ff, v13, v12
	v_lshrrev_b32_e32 v20, 8, v24
	v_bfe_u32 v21, v24, 20, 11
	v_cmp_ne_u32_e32 vcc_lo, 0, v19
	v_and_or_b32 v14, 0x1ff, v15, v14
	v_lshrrev_b32_e32 v25, 8, v15
	v_bfe_u32 v26, v15, 20, 11
	v_sub_nc_u32_e32 v27, 0x3f1, v21
	v_cndmask_b32_e64 v19, 0, 1, vcc_lo
	v_cmp_ne_u32_e32 vcc_lo, 0, v12
	v_and_or_b32 v6, 0x1ff, v7, v6
	v_bfe_u32 v29, v7, 20, 11
	v_lshrrev_b32_e32 v22, 16, v24
	v_and_or_b32 v19, 0xffe, v20, v19
	v_cndmask_b32_e64 v12, 0, 1, vcc_lo
	v_cmp_ne_u32_e32 vcc_lo, 0, v14
	v_and_or_b32 v16, 0x1ff, v17, v16
	v_lshrrev_b32_e32 v23, 8, v13
	v_bfe_u32 v24, v13, 20, 11
	v_add_nc_u32_e32 v21, 0xfffffc10, v21
	v_cndmask_b32_e64 v14, 0, 1, vcc_lo
	v_cmp_ne_u32_e32 vcc_lo, 0, v6
	v_lshrrev_b32_e32 v28, 8, v7
	v_bfe_u32 v32, v17, 20, 11
	v_sub_nc_u32_e32 v33, 0x3f1, v26
	v_med3_i32 v27, v27, 0, 13
	v_cndmask_b32_e64 v6, 0, 1, vcc_lo
	v_cmp_ne_u32_e32 vcc_lo, 0, v16
	v_sub_nc_u32_e32 v34, 0x3f1, v29
	v_and_or_b32 v14, 0xffe, v25, v14
	v_or_b32_e32 v25, 0x1000, v19
	v_lshrrev_b32_e32 v30, 16, v7
	v_cndmask_b32_e64 v16, 0, 1, vcc_lo
	v_cmp_ne_u32_e32 vcc_lo, 0, v19
	v_sub_nc_u32_e32 v7, 0x3f1, v24
	v_add_nc_u32_e32 v26, 0xfffffc10, v26
	v_sub_nc_u32_e32 v35, 0x3f1, v32
	v_and_or_b32 v12, 0xffe, v23, v12
	v_med3_i32 v20, v33, 0, 13
	v_med3_i32 v23, v34, 0, 13
	v_lshl_or_b32 v34, v21, 12, v19
	v_and_or_b32 v6, 0xffe, v28, v6
	v_cndmask_b32_e64 v19, 0, 1, vcc_lo
	v_or_b32_e32 v36, 0x1000, v14
	v_lshrrev_b32_e32 v38, v27, v25
	v_cmp_ne_u32_e32 vcc_lo, 0, v14
	v_lshrrev_b32_e32 v31, 8, v17
	v_add_nc_u32_e32 v29, 0xfffffc10, v29
	v_med3_i32 v7, v7, 0, 13
	v_med3_i32 v33, v35, 0, 13
	v_or_b32_e32 v35, 0x1000, v12
	v_lshl_or_b32 v37, v26, 12, v14
	v_cndmask_b32_e64 v14, 0, 1, vcc_lo
	v_lshrrev_b32_e32 v42, v20, v36
	v_lshlrev_b32_e32 v27, v27, v38
	v_cmp_ne_u32_e32 vcc_lo, 0, v6
	v_and_or_b32 v16, 0xffe, v31, v16
	v_lshrrev_b32_e32 v31, v7, v35
	v_or_b32_e32 v39, 0x1000, v6
	v_lshl_or_b32 v40, v29, 12, v6
	v_cndmask_b32_e64 v6, 0, 1, vcc_lo
	v_lshlrev_b32_e32 v20, v20, v42
	v_cmp_ne_u32_e32 vcc_lo, v27, v25
	v_lshlrev_b32_e32 v7, v7, v31
	v_lshrrev_b32_e32 v43, v23, v39
	v_add_nc_u32_e32 v24, 0xfffffc10, v24
	v_lshl_or_b32 v27, v6, 9, 0x7c00
	v_cndmask_b32_e64 v25, 0, 1, vcc_lo
	v_cmp_ne_u32_e32 vcc_lo, v20, v36
	v_lshlrev_b32_e32 v23, v23, v43
	v_lshl_or_b32 v28, v24, 12, v12
	v_cmp_gt_i32_e64 s3, 31, v21
	v_or_b32_e32 v25, v38, v25
	v_cndmask_b32_e64 v20, 0, 1, vcc_lo
	v_cmp_ne_u32_e32 vcc_lo, v7, v35
	v_lshl_or_b32 v19, v19, 9, 0x7c00
	v_lshl_or_b32 v14, v14, 9, 0x7c00
	v_lshrrev_b32_e32 v15, 16, v15
	v_or_b32_e32 v20, v42, v20
	v_cndmask_b32_e64 v7, 0, 1, vcc_lo
	v_cmp_ne_u32_e32 vcc_lo, v23, v39
	v_mul_f16_sdwa v18, v81, v8 dst_sel:DWORD dst_unused:UNUSED_PAD src0_sel:WORD_1 src1_sel:DWORD
	v_or_b32_e32 v41, 0x1000, v16
	v_and_or_b32 v10, 0x1ff, v11, v10
	v_or_b32_e32 v7, v31, v7
	v_cndmask_b32_e64 v23, 0, 1, vcc_lo
	v_cmp_gt_i32_e32 vcc_lo, 1, v21
	v_fmac_f16_e32 v18, v81, v1
	v_mul_f16_sdwa v1, v81, v1 dst_sel:DWORD dst_unused:UNUSED_PAD src0_sel:WORD_1 src1_sel:DWORD
	v_or_b32_e32 v6, v43, v23
	v_cndmask_b32_e32 v25, v34, v25, vcc_lo
	v_cmp_gt_i32_e32 vcc_lo, 1, v26
	v_fma_f16 v1, v81, v8, -v1
	v_and_b32_e32 v23, 7, v25
	v_cndmask_b32_e32 v20, v37, v20, vcc_lo
	v_cmp_gt_i32_e32 vcc_lo, 1, v24
	v_lshrrev_b32_e32 v25, 2, v25
	v_cvt_f32_f16_e32 v1, v1
	v_cmp_lt_i32_e64 s1, 5, v23
	v_cmp_eq_u32_e64 s2, 3, v23
	v_cndmask_b32_e32 v7, v28, v7, vcc_lo
	v_and_b32_e32 v28, 7, v20
	v_cmp_gt_i32_e32 vcc_lo, 1, v29
	v_lshrrev_b32_e32 v20, 2, v20
	v_and_b32_e32 v31, 7, v7
	v_cmp_eq_u32_e64 s0, 3, v28
	v_cndmask_b32_e32 v6, v40, v6, vcc_lo
	v_cmp_lt_i32_e32 vcc_lo, 5, v28
	v_lshrrev_b32_e32 v7, 2, v7
	v_lshrrev_b32_e32 v28, 16, v17
	v_and_b32_e32 v23, 7, v6
	s_or_b32 vcc_lo, s0, vcc_lo
	s_or_b32 s0, s2, s1
	v_add_co_ci_u32_e32 v20, vcc_lo, 0, v20, vcc_lo
	v_add_co_ci_u32_e64 v25, s0, 0, v25, s0
	v_cmp_gt_i32_e64 s0, 31, v26
	v_cmp_lt_i32_e32 vcc_lo, 5, v23
	v_lshrrev_b32_e32 v6, 2, v6
	v_cmp_lt_i32_e64 s1, 5, v31
	v_cmp_eq_u32_e64 s2, 3, v31
	v_cndmask_b32_e64 v20, 0x7c00, v20, s0
	v_cmp_eq_u32_e64 s0, 3, v23
	v_cndmask_b32_e64 v23, 0x7c00, v25, s3
	v_cmp_eq_u32_e64 s3, 0x40f, v26
	s_or_b32 vcc_lo, s0, vcc_lo
	v_add_co_ci_u32_e32 v6, vcc_lo, 0, v6, vcc_lo
	v_cmp_eq_u32_e32 vcc_lo, 0x40f, v21
	v_cndmask_b32_e64 v14, v20, v14, s3
	s_mul_hi_u32 s3, s8, 0xa8c
	v_cndmask_b32_e32 v19, v23, v19, vcc_lo
	v_cmp_gt_i32_e32 vcc_lo, 31, v29
	v_and_or_b32 v14, 0x8000, v15, v14
	v_add_nc_u32_e32 v23, 0xfffffc10, v32
	v_and_or_b32 v19, 0x8000, v22, v19
	v_cndmask_b32_e32 v15, 0x7c00, v6, vcc_lo
	s_or_b32 vcc_lo, s2, s1
	v_cvt_f32_f16_e32 v6, v18
	v_add_co_ci_u32_e32 v20, vcc_lo, 0, v7, vcc_lo
	v_cmp_ne_u32_e32 vcc_lo, 0, v12
	v_and_b32_e32 v14, 0xffff, v14
	v_cvt_f64_f32_e32 v[6:7], v6
	v_lshrrev_b32_e32 v18, v33, v41
	v_lshrrev_b32_e32 v22, 16, v13
	v_cndmask_b32_e64 v12, 0, 1, vcc_lo
	v_cmp_gt_i32_e32 vcc_lo, 31, v24
	v_lshl_or_b32 v19, v19, 16, v14
	v_lshlrev_b32_e32 v21, v33, v18
	s_mul_i32 s2, s9, 0xa8c
	v_lshl_or_b32 v12, v12, 9, 0x7c00
	v_cndmask_b32_e32 v20, 0x7c00, v20, vcc_lo
	v_cmp_eq_u32_e32 vcc_lo, 0x40f, v29
	s_add_i32 s2, s3, s2
	s_mul_i32 s3, s8, 0xa8c
	global_store_dword v[3:4], v19, off
	v_lshrrev_b32_e32 v19, 16, v9
	v_cndmask_b32_e32 v15, v15, v27, vcc_lo
	v_cmp_eq_u32_e32 vcc_lo, 0x40f, v24
	v_and_or_b32 v15, 0x8000, v30, v15
	v_cndmask_b32_e32 v14, v20, v12, vcc_lo
	v_cmp_ne_u32_e32 vcc_lo, 0, v10
	v_lshrrev_b32_e32 v12, 8, v11
	v_bfe_u32 v20, v11, 20, 11
	v_and_b32_e32 v8, 0xffff, v15
	v_cndmask_b32_e64 v10, 0, 1, vcc_lo
	v_cmp_ne_u32_e32 vcc_lo, v21, v41
	v_sub_nc_u32_e32 v24, 0x3f1, v20
	v_and_or_b32 v10, 0xffe, v12, v10
	v_cndmask_b32_e64 v21, 0, 1, vcc_lo
	v_mul_f64 v[12:13], v[6:7], s[4:5]
	v_lshl_or_b32 v7, v23, 12, v16
	v_cmp_gt_i32_e32 vcc_lo, 1, v23
	v_or_b32_e32 v6, v18, v21
	v_or_b32_e32 v18, 0x1000, v10
	v_med3_i32 v21, v24, 0, 13
	v_cndmask_b32_e32 v6, v7, v6, vcc_lo
	v_and_or_b32 v7, 0x8000, v22, v14
	v_cvt_f64_f32_e32 v[14:15], v1
	v_lshrrev_b32_e32 v22, v21, v18
	v_and_b32_e32 v24, 7, v6
	v_lshrrev_b32_e32 v6, 2, v6
	v_lshl_or_b32 v1, v7, 16, v8
	v_lshlrev_b32_e32 v21, v21, v22
	v_cmp_lt_i32_e32 vcc_lo, 5, v24
	v_cmp_eq_u32_e64 s0, 3, v24
	v_and_or_b32 v7, 0x1ff, v13, v12
	v_cmp_ne_u32_e64 s1, v21, v18
	v_add_nc_u32_e32 v18, 0xfffffc10, v20
	s_or_b32 vcc_lo, s0, vcc_lo
	v_lshrrev_b32_e32 v21, 8, v13
	v_add_co_ci_u32_e32 v6, vcc_lo, 0, v6, vcc_lo
	v_cmp_ne_u32_e32 vcc_lo, 0, v7
	v_cndmask_b32_e64 v12, 0, 1, s1
	ds_read2_b32 v[7:8], v88 offset0:12 offset1:237
	v_bfe_u32 v24, v13, 20, 11
	v_mul_f64 v[14:15], v[14:15], s[4:5]
	v_cndmask_b32_e64 v20, 0, 1, vcc_lo
	v_cmp_ne_u32_e32 vcc_lo, 0, v16
	v_or_b32_e32 v12, v22, v12
	v_lshl_or_b32 v22, v18, 12, v10
	v_lshrrev_b32_e32 v13, 16, v13
	v_and_or_b32 v20, 0xffe, v21, v20
	v_cndmask_b32_e64 v16, 0, 1, vcc_lo
	v_cmp_gt_i32_e32 vcc_lo, 1, v18
	v_sub_nc_u32_e32 v21, 0x3f1, v24
	v_lshl_or_b32 v16, v16, 9, 0x7c00
	v_cndmask_b32_e32 v12, v22, v12, vcc_lo
	v_cmp_gt_i32_e32 vcc_lo, 31, v23
	v_or_b32_e32 v22, 0x1000, v20
	v_med3_i32 v21, v21, 0, 13
	v_and_b32_e32 v25, 7, v12
	v_cndmask_b32_e32 v6, 0x7c00, v6, vcc_lo
	v_cmp_eq_u32_e32 vcc_lo, 0x40f, v23
	v_lshrrev_b32_e32 v26, v21, v22
	s_waitcnt lgkmcnt(0)
	v_lshrrev_b32_e32 v27, 16, v7
	v_cmp_eq_u32_e64 s0, 3, v25
	v_lshrrev_b32_e32 v12, 2, v12
	v_cndmask_b32_e32 v23, v6, v16, vcc_lo
	v_cmp_lt_i32_e32 vcc_lo, 5, v25
	v_lshlrev_b32_e32 v16, v21, v26
	v_mul_f16_sdwa v6, v80, v27 dst_sel:DWORD dst_unused:UNUSED_PAD src0_sel:WORD_1 src1_sel:DWORD
	v_and_or_b32 v14, 0x1ff, v15, v14
	v_add_nc_u32_e32 v21, 0xfffffc10, v24
	s_or_b32 vcc_lo, s0, vcc_lo
	v_bfe_u32 v24, v15, 20, 11
	v_add_co_ci_u32_e32 v12, vcc_lo, 0, v12, vcc_lo
	v_cmp_ne_u32_e32 vcc_lo, v16, v22
	v_fmac_f16_e32 v6, v80, v7
	v_lshrrev_b32_e32 v22, 8, v15
	v_and_or_b32 v23, 0x8000, v28, v23
	v_lshrrev_b32_e32 v15, 16, v15
	v_cndmask_b32_e64 v16, 0, 1, vcc_lo
	v_cmp_ne_u32_e32 vcc_lo, 0, v14
	v_cvt_f32_f16_e32 v6, v6
	v_and_b32_e32 v23, 0xffff, v23
	v_or_b32_e32 v25, v26, v16
	v_cndmask_b32_e64 v14, 0, 1, vcc_lo
	v_cmp_ne_u32_e32 vcc_lo, 0, v10
	v_cvt_f64_f32_e32 v[16:17], v6
	v_lshl_or_b32 v26, v21, 12, v20
	v_sub_nc_u32_e32 v6, 0x3f1, v24
	v_and_or_b32 v14, 0xffe, v22, v14
	v_cndmask_b32_e64 v10, 0, 1, vcc_lo
	v_cmp_gt_i32_e32 vcc_lo, 1, v21
	v_add_nc_u32_e32 v24, 0xfffffc10, v24
	v_lshl_or_b32 v10, v10, 9, 0x7c00
	v_cndmask_b32_e32 v22, v26, v25, vcc_lo
	v_med3_i32 v26, v6, 0, 13
	v_mul_f16_sdwa v6, v80, v7 dst_sel:DWORD dst_unused:UNUSED_PAD src0_sel:WORD_1 src1_sel:DWORD
	v_cmp_gt_i32_e32 vcc_lo, 31, v18
	v_or_b32_e32 v25, 0x1000, v14
	v_and_b32_e32 v29, 7, v22
	v_lshrrev_b32_e32 v22, 2, v22
	v_fma_f16 v27, v80, v27, -v6
	v_cndmask_b32_e32 v12, 0x7c00, v12, vcc_lo
	v_add_co_u32 v6, vcc_lo, v3, s3
	v_add_co_ci_u32_e32 v7, vcc_lo, s2, v4, vcc_lo
	v_cmp_eq_u32_e32 vcc_lo, 0x40f, v18
	v_lshrrev_b32_e32 v30, v26, v25
	v_mul_f64 v[16:17], v[16:17], s[4:5]
	v_cmp_eq_u32_e64 s0, 3, v29
	global_store_dword v[6:7], v1, off
	v_cndmask_b32_e32 v12, v12, v10, vcc_lo
	v_cvt_f32_f16_e32 v10, v27
	v_lshlrev_b32_e32 v18, v26, v30
	v_lshrrev_b32_e32 v26, 16, v11
	v_cmp_lt_i32_e32 vcc_lo, 5, v29
	v_cvt_f64_f32_e32 v[10:11], v10
	v_cmp_ne_u32_e64 s1, v18, v25
	v_lshl_or_b32 v25, v24, 12, v14
	s_or_b32 vcc_lo, s0, vcc_lo
	v_and_or_b32 v12, 0x8000, v26, v12
	v_add_co_ci_u32_e32 v22, vcc_lo, 0, v22, vcc_lo
	v_cndmask_b32_e64 v18, 0, 1, s1
	v_cmp_ne_u32_e32 vcc_lo, 0, v20
	v_lshl_or_b32 v23, v12, 16, v23
	v_or_b32_e32 v18, v30, v18
	v_cndmask_b32_e64 v20, 0, 1, vcc_lo
	v_cmp_gt_i32_e32 vcc_lo, 1, v24
	v_and_or_b32 v16, 0x1ff, v17, v16
	v_lshrrev_b32_e32 v4, 8, v17
	v_lshl_or_b32 v20, v20, 9, 0x7c00
	v_cndmask_b32_e32 v18, v25, v18, vcc_lo
	v_cmp_gt_i32_e32 vcc_lo, 31, v21
	v_cmp_ne_u32_e64 s1, 0, v16
	v_mul_f64 v[10:11], v[10:11], s[4:5]
	v_bfe_u32 v16, v17, 20, 11
	v_and_b32_e32 v25, 7, v18
	v_cndmask_b32_e32 v22, 0x7c00, v22, vcc_lo
	v_cmp_eq_u32_e32 vcc_lo, 0x40f, v21
	v_cndmask_b32_e64 v3, 0, 1, s1
	v_lshrrev_b32_e32 v1, 2, v18
	v_cmp_eq_u32_e64 s0, 3, v25
	v_cndmask_b32_e32 v20, v22, v20, vcc_lo
	v_cmp_lt_i32_e32 vcc_lo, 5, v25
	v_and_or_b32 v18, 0xffe, v4, v3
	v_sub_nc_u32_e32 v3, 0x3f1, v16
	v_mul_f16_sdwa v4, v79, v19 dst_sel:DWORD dst_unused:UNUSED_PAD src0_sel:WORD_1 src1_sel:DWORD
	v_and_or_b32 v13, 0x8000, v13, v20
	s_or_b32 vcc_lo, s0, vcc_lo
	v_or_b32_e32 v21, 0x1000, v18
	v_add_co_ci_u32_e32 v1, vcc_lo, 0, v1, vcc_lo
	v_med3_i32 v22, v3, 0, 13
	v_cmp_ne_u32_e32 vcc_lo, 0, v14
	v_fmac_f16_e32 v4, v79, v9
	v_and_or_b32 v3, 0x1ff, v11, v10
	v_lshrrev_b32_e32 v26, 8, v11
	v_lshrrev_b32_e32 v14, v22, v21
	v_cndmask_b32_e64 v10, 0, 1, vcc_lo
	v_cmp_gt_i32_e32 vcc_lo, 31, v24
	v_cvt_f32_f16_e32 v4, v4
	v_bfe_u32 v27, v11, 20, 11
	v_lshlrev_b32_e32 v22, v22, v14
	v_lshl_or_b32 v10, v10, 9, 0x7c00
	v_cndmask_b32_e32 v1, 0x7c00, v1, vcc_lo
	v_cmp_ne_u32_e32 vcc_lo, 0, v3
	v_cvt_f64_f32_e32 v[3:4], v4
	v_add_nc_u32_e32 v16, 0xfffffc10, v16
	v_mul_f16_sdwa v9, v79, v9 dst_sel:DWORD dst_unused:UNUSED_PAD src0_sel:WORD_1 src1_sel:DWORD
	v_lshrrev_b32_e32 v11, 16, v11
	v_cndmask_b32_e64 v25, 0, 1, vcc_lo
	v_cmp_ne_u32_e32 vcc_lo, v22, v21
	v_sub_nc_u32_e32 v22, 0x3f1, v27
	v_fma_f16 v9, v79, v19, -v9
	v_and_or_b32 v20, 0xffe, v26, v25
	v_cndmask_b32_e64 v21, 0, 1, vcc_lo
	v_cmp_eq_u32_e32 vcc_lo, 0x40f, v24
	v_med3_i32 v22, v22, 0, 13
	v_cvt_f32_f16_e32 v9, v9
	v_cndmask_b32_e32 v1, v1, v10, vcc_lo
	v_or_b32_e32 v10, v14, v21
	v_or_b32_e32 v21, 0x1000, v20
	v_lshl_or_b32 v14, v16, 12, v18
	v_cmp_gt_i32_e32 vcc_lo, 1, v16
	v_and_or_b32 v1, 0x8000, v15, v1
	v_mul_f64 v[3:4], v[3:4], s[4:5]
	v_lshrrev_b32_e32 v24, v22, v21
	v_and_b32_e32 v15, 0xffff, v13
	v_cndmask_b32_e32 v14, v14, v10, vcc_lo
	v_lshlrev_b32_e32 v12, v22, v24
	v_lshl_or_b32 v1, v1, 16, v15
	v_and_b32_e32 v10, 7, v14
	v_cmp_ne_u32_e64 s0, v12, v21
	v_add_co_u32 v12, s1, v6, s3
	v_cmp_lt_i32_e32 vcc_lo, 5, v10
	v_lshrrev_b32_e32 v6, 2, v14
	v_cndmask_b32_e64 v19, 0, 1, s0
	v_cmp_eq_u32_e64 s0, 3, v10
	v_cvt_f64_f32_e32 v[9:10], v9
	v_add_nc_u32_e32 v21, 0xfffffc10, v27
	v_add_co_ci_u32_e64 v13, s1, s2, v7, s1
	s_or_b32 vcc_lo, s0, vcc_lo
	v_or_b32_e32 v14, v24, v19
	v_add_co_ci_u32_e32 v22, vcc_lo, 0, v6, vcc_lo
	v_cmp_ne_u32_e32 vcc_lo, 0, v18
	v_lshl_or_b32 v19, v21, 12, v20
	v_and_or_b32 v3, 0x1ff, v4, v3
	ds_read2_b32 v[6:7], v87 offset0:4 offset1:229
	v_lshrrev_b32_e32 v15, 8, v4
	v_cndmask_b32_e64 v18, 0, 1, vcc_lo
	v_cmp_gt_i32_e32 vcc_lo, 1, v21
	global_store_dword v[12:13], v23, off
	v_lshl_or_b32 v18, v18, 9, 0x7c00
	v_cndmask_b32_e32 v14, v19, v14, vcc_lo
	v_cmp_ne_u32_e32 vcc_lo, 0, v3
	v_bfe_u32 v19, v4, 20, 11
	v_mul_f64 v[9:10], v[9:10], s[4:5]
	v_and_b32_e32 v24, 7, v14
	v_cndmask_b32_e64 v3, 0, 1, vcc_lo
	v_cmp_gt_i32_e32 vcc_lo, 31, v16
	v_lshrrev_b32_e32 v14, 2, v14
	v_cmp_eq_u32_e64 s0, 3, v24
	v_and_or_b32 v3, 0xffe, v15, v3
	v_cndmask_b32_e32 v22, 0x7c00, v22, vcc_lo
	v_cmp_eq_u32_e32 vcc_lo, 0x40f, v16
	v_sub_nc_u32_e32 v15, 0x3f1, v19
	v_add_nc_u32_e32 v19, 0xfffffc10, v19
	v_or_b32_e32 v16, 0x1000, v3
	v_cndmask_b32_e32 v18, v22, v18, vcc_lo
	v_cmp_lt_i32_e32 vcc_lo, 5, v24
	v_med3_i32 v15, v15, 0, 13
	s_waitcnt lgkmcnt(0)
	v_lshrrev_b32_e32 v22, 16, v6
	v_lshrrev_b32_e32 v24, 16, v17
	s_or_b32 vcc_lo, s0, vcc_lo
	v_lshrrev_b32_e32 v25, v15, v16
	v_add_co_ci_u32_e32 v14, vcc_lo, 0, v14, vcc_lo
	v_cmp_ne_u32_e32 vcc_lo, 0, v20
	v_mul_f16_sdwa v17, v78, v22 dst_sel:DWORD dst_unused:UNUSED_PAD src0_sel:WORD_1 src1_sel:DWORD
	v_lshlrev_b32_e32 v15, v15, v25
	v_and_or_b32 v9, 0x1ff, v10, v9
	v_bfe_u32 v27, v10, 20, 11
	v_cndmask_b32_e64 v20, 0, 1, vcc_lo
	v_cmp_gt_i32_e32 vcc_lo, 31, v21
	v_fmac_f16_e32 v17, v78, v6
	v_mul_f16_sdwa v6, v78, v6 dst_sel:DWORD dst_unused:UNUSED_PAD src0_sel:WORD_1 src1_sel:DWORD
	v_and_or_b32 v18, 0x8000, v24, v18
	v_lshl_or_b32 v20, v20, 9, 0x7c00
	v_cndmask_b32_e32 v26, 0x7c00, v14, vcc_lo
	v_cmp_ne_u32_e32 vcc_lo, v15, v16
	v_cvt_f32_f16_e32 v17, v17
	v_fma_f16 v6, v78, v22, -v6
	v_add_nc_u32_e32 v22, 0xfffffc10, v27
	v_and_b32_e32 v18, 0xffff, v18
	v_cndmask_b32_e64 v16, 0, 1, vcc_lo
	v_cmp_ne_u32_e32 vcc_lo, 0, v9
	v_cvt_f64_f32_e32 v[14:15], v17
	v_lshrrev_b32_e32 v17, 8, v10
	v_cvt_f32_f16_e32 v6, v6
	v_or_b32_e32 v16, v25, v16
	v_cndmask_b32_e64 v9, 0, 1, vcc_lo
	v_cmp_eq_u32_e32 vcc_lo, 0x40f, v21
	v_lshl_or_b32 v25, v19, 12, v3
	v_lshrrev_b32_e32 v10, 16, v10
	v_and_or_b32 v9, 0xffe, v17, v9
	v_cndmask_b32_e32 v20, v26, v20, vcc_lo
	v_cmp_gt_i32_e32 vcc_lo, 1, v19
	v_sub_nc_u32_e32 v17, 0x3f1, v27
	v_or_b32_e32 v21, 0x1000, v9
	v_and_or_b32 v20, 0x8000, v11, v20
	v_cndmask_b32_e32 v25, v25, v16, vcc_lo
	v_med3_i32 v26, v17, 0, 13
	v_add_co_u32 v16, vcc_lo, v12, s3
	v_add_co_ci_u32_e32 v17, vcc_lo, s2, v13, vcc_lo
	v_and_b32_e32 v28, 7, v25
	v_lshrrev_b32_e32 v24, v26, v21
	v_mul_f64 v[14:15], v[14:15], s[4:5]
	v_lshrrev_b32_e32 v13, 2, v25
	global_store_dword v[16:17], v1, off
	v_cmp_lt_i32_e32 vcc_lo, 5, v28
	v_cmp_eq_u32_e64 s0, 3, v28
	v_lshlrev_b32_e32 v11, v26, v24
	v_lshl_or_b32 v1, v20, 16, v18
	s_or_b32 vcc_lo, s0, vcc_lo
	v_cmp_ne_u32_e64 s1, v11, v21
	v_cvt_f64_f32_e32 v[11:12], v6
	v_add_co_ci_u32_e32 v6, vcc_lo, 0, v13, vcc_lo
	v_cmp_ne_u32_e32 vcc_lo, 0, v3
	v_cndmask_b32_e64 v21, 0, 1, s1
	v_cndmask_b32_e64 v3, 0, 1, vcc_lo
	v_cmp_gt_i32_e32 vcc_lo, 31, v19
	v_or_b32_e32 v13, v24, v21
	v_lshl_or_b32 v21, v22, 12, v9
	v_and_or_b32 v14, 0x1ff, v15, v14
	v_lshl_or_b32 v3, v3, 9, 0x7c00
	v_cndmask_b32_e32 v6, 0x7c00, v6, vcc_lo
	v_cmp_gt_i32_e32 vcc_lo, 1, v22
	v_lshrrev_b32_e32 v18, 8, v15
	v_bfe_u32 v20, v15, 20, 11
	v_lshrrev_b32_e32 v24, 16, v4
	v_lshrrev_b32_e32 v15, 16, v15
	v_cndmask_b32_e32 v13, v21, v13, vcc_lo
	v_cmp_eq_u32_e32 vcc_lo, 0x40f, v19
	v_lshrrev_b32_e32 v19, 16, v5
	v_mul_f64 v[11:12], v[11:12], s[4:5]
	v_sub_nc_u32_e32 v21, 0x3f1, v20
	v_add_nc_u32_e32 v20, 0xfffffc10, v20
	v_cndmask_b32_e32 v6, v6, v3, vcc_lo
	v_cmp_ne_u32_e32 vcc_lo, 0, v14
	v_and_b32_e32 v3, 7, v13
	v_med3_i32 v21, v21, 0, 13
	v_and_or_b32 v6, 0x8000, v24, v6
	v_cndmask_b32_e64 v14, 0, 1, vcc_lo
	v_cmp_lt_i32_e32 vcc_lo, 5, v3
	v_cmp_eq_u32_e64 s0, 3, v3
	v_lshrrev_b32_e32 v3, 2, v13
	v_and_b32_e32 v6, 0xffff, v6
	v_and_or_b32 v18, 0xffe, v18, v14
	v_mul_f16_sdwa v14, v77, v19 dst_sel:DWORD dst_unused:UNUSED_PAD src0_sel:WORD_1 src1_sel:DWORD
	s_or_b32 vcc_lo, s0, vcc_lo
	v_add_co_ci_u32_e32 v23, vcc_lo, 0, v3, vcc_lo
	v_fmac_f16_e32 v14, v77, v5
	v_or_b32_e32 v13, 0x1000, v18
	v_cmp_ne_u32_e32 vcc_lo, 0, v9
	v_and_or_b32 v11, 0x1ff, v12, v11
	v_cvt_f32_f16_e32 v3, v14
	v_lshrrev_b32_e32 v14, v21, v13
	v_cndmask_b32_e64 v9, 0, 1, vcc_lo
	v_cmp_gt_i32_e32 vcc_lo, 31, v22
	v_cvt_f64_f32_e32 v[3:4], v3
	v_lshlrev_b32_e32 v21, v21, v14
	v_lshl_or_b32 v9, v9, 9, 0x7c00
	v_cndmask_b32_e32 v23, 0x7c00, v23, vcc_lo
	v_cmp_eq_u32_e32 vcc_lo, 0x40f, v22
	v_bfe_u32 v22, v12, 20, 11
	v_cndmask_b32_e32 v9, v23, v9, vcc_lo
	v_cmp_ne_u32_e32 vcc_lo, v21, v13
	v_lshrrev_b32_e32 v21, 8, v12
	v_mul_f16_sdwa v23, v77, v5 dst_sel:DWORD dst_unused:UNUSED_PAD src0_sel:WORD_1 src1_sel:DWORD
	v_cndmask_b32_e64 v13, 0, 1, vcc_lo
	v_cmp_ne_u32_e32 vcc_lo, 0, v11
	v_fma_f16 v19, v77, v19, -v23
	v_or_b32_e32 v13, v14, v13
	v_cndmask_b32_e64 v11, 0, 1, vcc_lo
	v_mul_f64 v[4:5], v[3:4], s[4:5]
	v_sub_nc_u32_e32 v14, 0x3f1, v22
	v_cmp_gt_i32_e32 vcc_lo, 1, v20
	v_and_or_b32 v11, 0xffe, v21, v11
	v_lshl_or_b32 v21, v20, 12, v18
	v_med3_i32 v14, v14, 0, 13
	v_or_b32_e32 v3, 0x1000, v11
	v_cndmask_b32_e32 v21, v21, v13, vcc_lo
	v_and_or_b32 v13, 0x8000, v10, v9
	v_add_co_u32 v9, vcc_lo, v16, s3
	v_lshrrev_b32_e32 v23, v14, v3
	v_and_b32_e32 v24, 7, v21
	v_cvt_f32_f16_e32 v16, v19
	v_add_co_ci_u32_e32 v10, vcc_lo, s2, v17, vcc_lo
	v_lshlrev_b32_e32 v19, v14, v23
	v_cmp_lt_i32_e32 vcc_lo, 5, v24
	v_cmp_eq_u32_e64 s0, 3, v24
	v_lshl_or_b32 v6, v13, 16, v6
	v_cvt_f64_f32_e32 v[13:14], v16
	v_lshrrev_b32_e32 v21, 2, v21
	v_and_or_b32 v4, 0x1ff, v5, v4
	v_cmp_ne_u32_e64 s1, v19, v3
	s_or_b32 vcc_lo, s0, vcc_lo
	v_lshrrev_b32_e32 v24, 8, v5
	v_add_co_ci_u32_e32 v19, vcc_lo, 0, v21, vcc_lo
	v_cndmask_b32_e64 v3, 0, 1, s1
	v_cmp_ne_u32_e32 vcc_lo, 0, v4
	v_add_nc_u32_e32 v21, 0xfffffc10, v22
	v_bfe_u32 v25, v5, 20, 11
	s_mul_i32 s0, s9, 0xffffd954
	v_or_b32_e32 v22, v23, v3
	v_cndmask_b32_e64 v23, 0, 1, vcc_lo
	v_cmp_ne_u32_e32 vcc_lo, 0, v18
	ds_read2_b32 v[3:4], v86 offset0:10 offset1:235
	v_lshl_or_b32 v26, v21, 12, v11
	s_sub_i32 s6, s0, s8
	v_and_or_b32 v23, 0xffe, v24, v23
	v_cndmask_b32_e64 v18, 0, 1, vcc_lo
	v_cmp_gt_i32_e32 vcc_lo, 31, v20
	v_mul_f64 v[13:14], v[13:14], s[4:5]
	v_sub_nc_u32_e32 v24, 0x3f1, v25
	v_mad_u64_u32 v[16:17], null, 0xffffd954, s8, v[9:10]
	v_cndmask_b32_e32 v19, 0x7c00, v19, vcc_lo
	v_cmp_gt_i32_e32 vcc_lo, 1, v21
	v_med3_i32 v24, v24, 0, 13
	v_lshl_or_b32 v18, v18, 9, 0x7c00
	v_lshrrev_b32_e32 v5, 16, v5
	v_cndmask_b32_e32 v22, v26, v22, vcc_lo
	v_or_b32_e32 v26, 0x1000, v23
	v_cmp_eq_u32_e32 vcc_lo, 0x40f, v20
	v_add_nc_u32_e32 v17, s6, v17
	s_waitcnt lgkmcnt(0)
	v_lshrrev_b32_e32 v29, 16, v3
	v_and_b32_e32 v27, 7, v22
	v_lshrrev_b32_e32 v28, v24, v26
	v_cndmask_b32_e32 v20, v19, v18, vcc_lo
	v_lshrrev_b32_e32 v22, 2, v22
	v_mul_f16_sdwa v18, v76, v29 dst_sel:DWORD dst_unused:UNUSED_PAD src0_sel:WORD_1 src1_sel:DWORD
	v_cmp_lt_i32_e32 vcc_lo, 5, v27
	v_cmp_eq_u32_e64 s0, 3, v27
	v_lshlrev_b32_e32 v19, v24, v28
	v_and_or_b32 v13, 0x1ff, v14, v13
	v_fmac_f16_e32 v18, v76, v3
	v_add_nc_u32_e32 v24, 0xfffffc10, v25
	s_or_b32 vcc_lo, s0, vcc_lo
	v_lshrrev_b32_e32 v25, 8, v14
	v_add_co_ci_u32_e32 v22, vcc_lo, 0, v22, vcc_lo
	v_cmp_ne_u32_e32 vcc_lo, v19, v26
	v_cvt_f32_f16_e32 v18, v18
	v_bfe_u32 v26, v14, 20, 11
	v_mul_f16_sdwa v3, v76, v3 dst_sel:DWORD dst_unused:UNUSED_PAD src0_sel:WORD_1 src1_sel:DWORD
	v_and_or_b32 v15, 0x8000, v15, v20
	v_cndmask_b32_e64 v19, 0, 1, vcc_lo
	v_cmp_ne_u32_e32 vcc_lo, 0, v13
	global_store_dword v[9:10], v1, off
	global_store_dword v[16:17], v6, off
	v_fma_f16 v3, v76, v29, -v3
	v_lshrrev_b32_e32 v10, 16, v8
	v_or_b32_e32 v27, v28, v19
	v_cndmask_b32_e64 v13, 0, 1, vcc_lo
	v_cmp_ne_u32_e32 vcc_lo, 0, v11
	v_cvt_f64_f32_e32 v[18:19], v18
	v_lshl_or_b32 v28, v24, 12, v23
	v_cvt_f32_f16_e32 v3, v3
	v_and_or_b32 v13, 0xffe, v25, v13
	v_cndmask_b32_e64 v11, 0, 1, vcc_lo
	v_cmp_gt_i32_e32 vcc_lo, 1, v24
	v_sub_nc_u32_e32 v25, 0x3f1, v26
	v_and_b32_e32 v15, 0xffff, v15
	v_lshl_or_b32 v11, v11, 9, 0x7c00
	v_cndmask_b32_e32 v27, v28, v27, vcc_lo
	v_cmp_gt_i32_e32 vcc_lo, 31, v21
	v_or_b32_e32 v28, 0x1000, v13
	v_med3_i32 v25, v25, 0, 13
	v_and_b32_e32 v29, 7, v27
	v_cndmask_b32_e32 v22, 0x7c00, v22, vcc_lo
	v_cmp_eq_u32_e32 vcc_lo, 0x40f, v21
	v_lshrrev_b32_e32 v30, v25, v28
	v_cvt_f64_f32_e32 v[20:21], v3
	v_cmp_eq_u32_e64 s0, 3, v29
	v_lshrrev_b32_e32 v3, 16, v12
	v_cndmask_b32_e32 v11, v22, v11, vcc_lo
	v_cmp_lt_i32_e32 vcc_lo, 5, v29
	v_lshrrev_b32_e32 v12, 2, v27
	v_lshlrev_b32_e32 v22, v25, v30
	v_mul_f64 v[18:19], v[18:19], s[4:5]
	v_add_nc_u32_e32 v25, 0xfffffc10, v26
	s_or_b32 vcc_lo, s0, vcc_lo
	v_and_or_b32 v3, 0x8000, v3, v11
	v_add_co_ci_u32_e32 v12, vcc_lo, 0, v12, vcc_lo
	v_cmp_ne_u32_e64 s1, v22, v28
	v_cmp_ne_u32_e32 vcc_lo, 0, v23
	v_lshl_or_b32 v26, v25, 12, v13
	v_lshl_or_b32 v3, v3, 16, v15
	v_cndmask_b32_e64 v22, 0, 1, s1
	v_cndmask_b32_e64 v23, 0, 1, vcc_lo
	v_cmp_gt_i32_e32 vcc_lo, 31, v24
	v_or_b32_e32 v22, v30, v22
	v_lshl_or_b32 v23, v23, 9, 0x7c00
	v_cndmask_b32_e32 v27, 0x7c00, v12, vcc_lo
	v_cmp_gt_i32_e32 vcc_lo, 1, v25
	v_mul_f64 v[11:12], v[20:21], s[4:5]
	v_and_or_b32 v18, 0x1ff, v19, v18
	v_lshrrev_b32_e32 v6, 8, v19
	v_cndmask_b32_e32 v22, v26, v22, vcc_lo
	v_cmp_eq_u32_e32 vcc_lo, 0x40f, v24
	v_bfe_u32 v9, v19, 20, 11
	v_cmp_ne_u32_e64 s1, 0, v18
	v_lshrrev_b32_e32 v19, 16, v19
	v_and_b32_e32 v26, 7, v22
	v_cndmask_b32_e32 v20, v27, v23, vcc_lo
	v_cndmask_b32_e64 v1, 0, 1, s1
	v_cmp_lt_i32_e32 vcc_lo, 5, v26
	v_cmp_eq_u32_e64 s0, 3, v26
	v_and_or_b32 v18, 0x8000, v5, v20
	v_lshrrev_b32_e32 v5, 2, v22
	v_and_or_b32 v1, 0xffe, v6, v1
	v_sub_nc_u32_e32 v6, 0x3f1, v9
	s_or_b32 vcc_lo, s0, vcc_lo
	v_mul_f16_sdwa v20, v75, v10 dst_sel:DWORD dst_unused:UNUSED_PAD src0_sel:WORD_1 src1_sel:DWORD
	v_add_co_ci_u32_e32 v5, vcc_lo, 0, v5, vcc_lo
	v_cmp_ne_u32_e32 vcc_lo, 0, v13
	v_or_b32_e32 v21, 0x1000, v1
	v_med3_i32 v22, v6, 0, 13
	v_and_or_b32 v6, 0x1ff, v12, v11
	v_fmac_f16_e32 v20, v75, v8
	v_cndmask_b32_e64 v11, 0, 1, vcc_lo
	v_cmp_gt_i32_e32 vcc_lo, 31, v25
	v_lshrrev_b32_e32 v13, v22, v21
	v_lshrrev_b32_e32 v24, 8, v12
	v_bfe_u32 v26, v12, 20, 11
	v_lshl_or_b32 v11, v11, 9, 0x7c00
	v_cndmask_b32_e32 v23, 0x7c00, v5, vcc_lo
	v_cmp_ne_u32_e32 vcc_lo, 0, v6
	v_cvt_f32_f16_e32 v5, v20
	v_lshlrev_b32_e32 v22, v22, v13
	v_mul_f16_sdwa v8, v75, v8 dst_sel:DWORD dst_unused:UNUSED_PAD src0_sel:WORD_1 src1_sel:DWORD
	v_and_b32_e32 v18, 0xffff, v18
	v_cndmask_b32_e64 v20, 0, 1, vcc_lo
	v_cmp_eq_u32_e32 vcc_lo, 0x40f, v25
	v_cvt_f64_f32_e32 v[5:6], v5
	v_fma_f16 v10, v75, v10, -v8
	v_lshrrev_b32_e32 v25, 16, v2
	v_and_or_b32 v20, 0xffe, v24, v20
	v_cndmask_b32_e32 v11, v23, v11, vcc_lo
	v_sub_nc_u32_e32 v23, 0x3f1, v26
	v_cmp_ne_u32_e32 vcc_lo, v22, v21
	v_add_nc_u32_e32 v22, 0xfffffc10, v9
	v_lshrrev_b32_e32 v9, 16, v14
	v_or_b32_e32 v14, 0x1000, v20
	v_med3_i32 v23, v23, 0, 13
	v_cndmask_b32_e64 v21, 0, 1, vcc_lo
	v_cmp_gt_i32_e32 vcc_lo, 1, v22
	v_and_or_b32 v15, 0x8000, v9, v11
	v_cvt_f32_f16_e32 v10, v10
	v_lshrrev_b32_e32 v24, v23, v14
	v_or_b32_e32 v13, v13, v21
	v_lshl_or_b32 v21, v22, 12, v1
	v_lshrrev_b32_e32 v12, 16, v12
	v_lshlrev_b32_e32 v11, v23, v24
	v_cndmask_b32_e32 v13, v21, v13, vcc_lo
	v_add_co_u32 v8, vcc_lo, v16, s3
	v_cmp_ne_u32_e64 s0, v11, v14
	v_mul_f64 v[5:6], v[5:6], s[4:5]
	v_and_b32_e32 v21, 7, v13
	v_add_co_ci_u32_e32 v9, vcc_lo, s2, v17, vcc_lo
	v_cndmask_b32_e64 v14, 0, 1, s0
	v_lshrrev_b32_e32 v13, 2, v13
	v_cmp_lt_i32_e32 vcc_lo, 5, v21
	v_cmp_eq_u32_e64 s0, 3, v21
	v_cvt_f64_f32_e32 v[10:11], v10
	v_add_nc_u32_e32 v17, 0xfffffc10, v26
	v_lshl_or_b32 v21, v15, 16, v18
	v_or_b32_e32 v14, v24, v14
	s_or_b32 vcc_lo, s0, vcc_lo
	global_store_dword v[8:9], v3, off
	v_add_co_ci_u32_e32 v16, vcc_lo, 0, v13, vcc_lo
	v_cmp_ne_u32_e32 vcc_lo, 0, v1
	v_lshl_or_b32 v15, v17, 12, v20
	v_cndmask_b32_e64 v1, 0, 1, vcc_lo
	v_cmp_gt_i32_e32 vcc_lo, 1, v17
	v_and_or_b32 v5, 0x1ff, v6, v5
	v_lshrrev_b32_e32 v23, 8, v6
	v_bfe_u32 v24, v6, 20, 11
	v_lshl_or_b32 v1, v1, 9, 0x7c00
	v_cndmask_b32_e32 v15, v15, v14, vcc_lo
	v_add_co_u32 v13, vcc_lo, v8, s3
	v_add_co_ci_u32_e32 v14, vcc_lo, s2, v9, vcc_lo
	v_cmp_gt_i32_e32 vcc_lo, 31, v22
	v_mul_f64 v[10:11], v[10:11], s[4:5]
	v_and_b32_e32 v18, 7, v15
	v_lshrrev_b32_e32 v15, 2, v15
	v_lshrrev_b32_e32 v6, 16, v6
	v_cndmask_b32_e32 v16, 0x7c00, v16, vcc_lo
	v_cmp_ne_u32_e32 vcc_lo, 0, v5
	v_cmp_eq_u32_e64 s0, 3, v18
	global_store_dword v[13:14], v21, off
	v_cndmask_b32_e64 v5, 0, 1, vcc_lo
	v_cmp_eq_u32_e32 vcc_lo, 0x40f, v22
	v_sub_nc_u32_e32 v22, 0x3f1, v24
	v_and_or_b32 v5, 0xffe, v23, v5
	v_cndmask_b32_e32 v1, v16, v1, vcc_lo
	v_cmp_lt_i32_e32 vcc_lo, 5, v18
	v_mul_f16_sdwa v16, v74, v25 dst_sel:DWORD dst_unused:UNUSED_PAD src0_sel:WORD_1 src1_sel:DWORD
	v_med3_i32 v22, v22, 0, 13
	v_or_b32_e32 v18, 0x1000, v5
	v_and_or_b32 v1, 0x8000, v19, v1
	s_or_b32 vcc_lo, s0, vcc_lo
	v_fmac_f16_e32 v16, v74, v2
	v_add_co_ci_u32_e32 v23, vcc_lo, 0, v15, vcc_lo
	v_cmp_ne_u32_e32 vcc_lo, 0, v20
	v_and_or_b32 v10, 0x1ff, v11, v10
	v_cvt_f32_f16_e32 v15, v16
	v_lshrrev_b32_e32 v26, v22, v18
	v_lshrrev_b32_e32 v19, 8, v11
	v_cndmask_b32_e64 v20, 0, 1, vcc_lo
	v_cmp_gt_i32_e32 vcc_lo, 31, v17
	v_cvt_f64_f32_e32 v[15:16], v15
	v_lshlrev_b32_e32 v22, v22, v26
	v_bfe_u32 v27, v11, 20, 11
	v_lshl_or_b32 v20, v20, 9, 0x7c00
	v_cndmask_b32_e32 v23, 0x7c00, v23, vcc_lo
	v_cmp_ne_u32_e32 vcc_lo, 0, v10
	v_mul_f16_sdwa v2, v74, v2 dst_sel:DWORD dst_unused:UNUSED_PAD src0_sel:WORD_1 src1_sel:DWORD
	v_and_b32_e32 v1, 0xffff, v1
	v_lshrrev_b32_e32 v11, 16, v11
	v_cndmask_b32_e64 v10, 0, 1, vcc_lo
	v_cmp_eq_u32_e32 vcc_lo, 0x40f, v17
	v_fma_f16 v2, v74, v25, -v2
	v_and_or_b32 v10, 0xffe, v19, v10
	v_cndmask_b32_e32 v17, v23, v20, vcc_lo
	v_cmp_ne_u32_e32 vcc_lo, v22, v18
	v_sub_nc_u32_e32 v19, 0x3f1, v27
	v_add_nc_u32_e32 v20, 0xfffffc10, v24
	v_or_b32_e32 v23, 0x1000, v10
	v_and_or_b32 v12, 0x8000, v12, v17
	v_cndmask_b32_e64 v18, 0, 1, vcc_lo
	v_med3_i32 v19, v19, 0, 13
	v_lshl_or_b32 v22, v20, 12, v5
	v_cmp_gt_i32_e32 vcc_lo, 1, v20
	v_mul_f64 v[15:16], v[15:16], s[4:5]
	v_or_b32_e32 v18, v26, v18
	v_lshrrev_b32_e32 v17, v19, v23
	v_lshl_or_b32 v3, v12, 16, v1
	v_cvt_f32_f16_e32 v9, v2
	v_cndmask_b32_e32 v18, v22, v18, vcc_lo
	v_lshlrev_b32_e32 v8, v19, v17
	v_add_co_u32 v1, vcc_lo, v13, s3
	v_add_co_ci_u32_e32 v2, vcc_lo, s2, v14, vcc_lo
	v_and_b32_e32 v12, 7, v18
	v_cmp_ne_u32_e64 s0, v8, v23
	v_add_nc_u32_e32 v22, 0xfffffc10, v27
	v_cvt_f64_f32_e32 v[8:9], v9
	v_lshrrev_b32_e32 v23, 16, v7
	v_cmp_lt_i32_e32 vcc_lo, 5, v12
	v_cndmask_b32_e64 v19, 0, 1, s0
	v_cmp_eq_u32_e64 s0, 3, v12
	v_lshrrev_b32_e32 v12, 2, v18
	v_lshl_or_b32 v18, v22, 12, v10
	v_and_or_b32 v15, 0x1ff, v16, v15
	v_or_b32_e32 v17, v17, v19
	s_or_b32 vcc_lo, s0, vcc_lo
	v_bfe_u32 v19, v16, 20, 11
	v_add_co_ci_u32_e32 v12, vcc_lo, 0, v12, vcc_lo
	v_cmp_gt_i32_e32 vcc_lo, 1, v22
	v_mul_f16_sdwa v25, v73, v23 dst_sel:DWORD dst_unused:UNUSED_PAD src0_sel:WORD_1 src1_sel:DWORD
	global_store_dword v[1:2], v3, off
	v_mul_f16_sdwa v3, v73, v7 dst_sel:DWORD dst_unused:UNUSED_PAD src0_sel:WORD_1 src1_sel:DWORD
	v_cndmask_b32_e32 v17, v18, v17, vcc_lo
	v_cmp_ne_u32_e32 vcc_lo, 0, v15
	v_lshrrev_b32_e32 v18, 8, v16
	v_fmac_f16_e32 v25, v73, v7
	v_mul_f64 v[8:9], v[8:9], s[4:5]
	v_and_b32_e32 v24, 7, v17
	v_cndmask_b32_e64 v15, 0, 1, vcc_lo
	v_cmp_ne_u32_e32 vcc_lo, 0, v5
	v_lshrrev_b32_e32 v17, 2, v17
	v_cvt_f32_f16_e32 v25, v25
	v_cmp_eq_u32_e64 s0, 3, v24
	v_and_or_b32 v15, 0xffe, v18, v15
	v_cndmask_b32_e64 v5, 0, 1, vcc_lo
	v_cmp_gt_i32_e32 vcc_lo, 31, v20
	v_sub_nc_u32_e32 v18, 0x3f1, v19
	v_add_nc_u32_e32 v19, 0xfffffc10, v19
	v_or_b32_e32 v26, 0x1000, v15
	v_lshl_or_b32 v5, v5, 9, 0x7c00
	v_cndmask_b32_e32 v12, 0x7c00, v12, vcc_lo
	v_cmp_lt_i32_e32 vcc_lo, 5, v24
	v_med3_i32 v18, v18, 0, 13
	v_fma_f16 v3, v73, v23, -v3
	v_add_co_u32 v7, s1, v1, s3
	s_or_b32 vcc_lo, s0, vcc_lo
	v_lshrrev_b32_e32 v24, v18, v26
	v_add_co_ci_u32_e32 v27, vcc_lo, 0, v17, vcc_lo
	v_cmp_ne_u32_e32 vcc_lo, 0, v10
	v_and_or_b32 v8, 0x1ff, v9, v8
	v_lshlrev_b32_e32 v28, v18, v24
	v_cvt_f64_f32_e32 v[17:18], v25
	v_cvt_f32_f16_e32 v1, v3
	v_cndmask_b32_e64 v10, 0, 1, vcc_lo
	v_cmp_gt_i32_e32 vcc_lo, 31, v22
	v_lshrrev_b32_e32 v16, 16, v16
	v_lshl_or_b32 v10, v10, 9, 0x7c00
	v_cndmask_b32_e32 v25, 0x7c00, v27, vcc_lo
	v_cmp_eq_u32_e32 vcc_lo, 0x40f, v20
	v_lshrrev_b32_e32 v20, 8, v9
	v_cndmask_b32_e32 v5, v12, v5, vcc_lo
	v_cmp_ne_u32_e32 vcc_lo, v28, v26
	v_cndmask_b32_e64 v12, 0, 1, vcc_lo
	v_cmp_eq_u32_e32 vcc_lo, 0x40f, v22
	v_bfe_u32 v22, v9, 20, 11
	v_lshrrev_b32_e32 v9, 16, v9
	v_or_b32_e32 v12, v24, v12
	v_cndmask_b32_e32 v10, v25, v10, vcc_lo
	v_cmp_ne_u32_e32 vcc_lo, 0, v8
	v_lshl_or_b32 v24, v19, 12, v15
	v_and_or_b32 v25, 0x8000, v6, v5
	v_mul_f64 v[5:6], v[17:18], s[4:5]
	v_and_or_b32 v10, 0x8000, v11, v10
	v_cndmask_b32_e64 v8, 0, 1, vcc_lo
	v_cmp_gt_i32_e32 vcc_lo, 1, v19
	v_and_b32_e32 v11, 0xffff, v25
	v_and_or_b32 v20, 0xffe, v20, v8
	v_sub_nc_u32_e32 v8, 0x3f1, v22
	v_cndmask_b32_e32 v12, v24, v12, vcc_lo
	v_lshl_or_b32 v14, v10, 16, v11
	v_or_b32_e32 v17, 0x1000, v20
	v_med3_i32 v8, v8, 0, 13
	v_and_b32_e32 v18, 7, v12
	v_lshrrev_b32_e32 v11, 2, v12
	v_add_nc_u32_e32 v12, 0xfffffc10, v22
	v_lshrrev_b32_e32 v13, v8, v17
	v_cmp_lt_i32_e32 vcc_lo, 5, v18
	v_cmp_eq_u32_e64 s0, 3, v18
	v_lshrrev_b32_e32 v18, 16, v0
	v_and_or_b32 v3, 0x1ff, v6, v5
	v_lshlrev_b32_e32 v10, v8, v13
	v_add_co_ci_u32_e64 v8, s1, s2, v2, s1
	s_or_b32 vcc_lo, s0, vcc_lo
	v_cvt_f64_f32_e32 v[1:2], v1
	v_cmp_ne_u32_e64 s1, v10, v17
	v_add_co_ci_u32_e32 v10, vcc_lo, 0, v11, vcc_lo
	v_cmp_ne_u32_e32 vcc_lo, 0, v15
	v_lshrrev_b32_e32 v15, 8, v6
	v_cndmask_b32_e64 v5, 0, 1, s1
	v_bfe_u32 v17, v6, 20, 11
	v_mul_f16_sdwa v21, v72, v18 dst_sel:DWORD dst_unused:UNUSED_PAD src0_sel:WORD_1 src1_sel:DWORD
	v_cndmask_b32_e64 v11, 0, 1, vcc_lo
	v_cmp_ne_u32_e32 vcc_lo, 0, v3
	v_or_b32_e32 v5, v13, v5
	v_lshl_or_b32 v13, v12, 12, v20
	v_fmac_f16_e32 v21, v72, v0
	v_lshl_or_b32 v24, v11, 9, 0x7c00
	v_cndmask_b32_e64 v3, 0, 1, vcc_lo
	v_cmp_gt_i32_e32 vcc_lo, 1, v12
	v_cmp_eq_u32_e64 s1, 0x40f, v19
	v_mul_f16_sdwa v0, v72, v0 dst_sel:DWORD dst_unused:UNUSED_PAD src0_sel:WORD_1 src1_sel:DWORD
	global_store_dword v[7:8], v14, off
	v_and_or_b32 v15, 0xffe, v15, v3
	v_cndmask_b32_e32 v5, v13, v5, vcc_lo
	v_cmp_gt_i32_e32 vcc_lo, 31, v19
	v_sub_nc_u32_e32 v3, 0x3f1, v17
	v_fma_f16 v0, v72, v18, -v0
	v_or_b32_e32 v13, 0x1000, v15
	v_cndmask_b32_e32 v23, 0x7c00, v10, vcc_lo
	v_and_b32_e32 v10, 7, v5
	v_med3_i32 v22, v3, 0, 13
	v_lshrrev_b32_e32 v5, 2, v5
	v_mul_f64 v[2:3], v[1:2], s[4:5]
	v_cvt_f32_f16_e32 v1, v21
	v_cmp_lt_i32_e32 vcc_lo, 5, v10
	v_cmp_eq_u32_e64 s0, 3, v10
	v_lshrrev_b32_e32 v21, v22, v13
	v_cndmask_b32_e64 v19, v23, v24, s1
	v_cvt_f64_f32_e32 v[10:11], v1
	v_cvt_f32_f16_e32 v0, v0
	s_or_b32 vcc_lo, s0, vcc_lo
	v_lshlrev_b32_e32 v1, v22, v21
	v_add_co_ci_u32_e32 v5, vcc_lo, 0, v5, vcc_lo
	v_cmp_ne_u32_e32 vcc_lo, 0, v20
	v_and_or_b32 v16, 0x8000, v16, v19
	v_lshrrev_b32_e32 v22, 16, v4
	v_cndmask_b32_e64 v20, 0, 1, vcc_lo
	v_cmp_ne_u32_e32 vcc_lo, v1, v13
	v_add_nc_u32_e32 v13, 0xfffffc10, v17
	v_and_b32_e32 v16, 0xffff, v16
	v_lshl_or_b32 v17, v20, 9, 0x7c00
	v_cndmask_b32_e64 v1, 0, 1, vcc_lo
	v_cmp_gt_i32_e32 vcc_lo, 31, v12
	v_and_or_b32 v2, 0x1ff, v3, v2
	v_lshl_or_b32 v20, v13, 12, v15
	v_or_b32_e32 v1, v21, v1
	v_cndmask_b32_e32 v5, 0x7c00, v5, vcc_lo
	v_cmp_eq_u32_e32 vcc_lo, 0x40f, v12
	v_mul_f64 v[10:11], v[10:11], s[4:5]
	v_lshrrev_b32_e32 v12, 8, v3
	v_cndmask_b32_e32 v5, v5, v17, vcc_lo
	v_cmp_gt_i32_e32 vcc_lo, 1, v13
	v_bfe_u32 v17, v3, 20, 11
	v_lshrrev_b32_e32 v3, 16, v3
	v_and_or_b32 v5, 0x8000, v9, v5
	v_cndmask_b32_e32 v1, v20, v1, vcc_lo
	v_cmp_ne_u32_e32 vcc_lo, 0, v2
	v_and_b32_e32 v19, 7, v1
	v_cndmask_b32_e64 v2, 0, 1, vcc_lo
	v_lshrrev_b32_e32 v18, 2, v1
	v_cvt_f64_f32_e32 v[0:1], v0
	v_cmp_lt_i32_e32 vcc_lo, 5, v19
	v_and_or_b32 v12, 0xffe, v12, v2
	v_sub_nc_u32_e32 v2, 0x3f1, v17
	v_cmp_eq_u32_e64 s0, 3, v19
	v_and_or_b32 v10, 0x1ff, v11, v10
	v_lshrrev_b32_e32 v14, 8, v11
	v_or_b32_e32 v9, 0x1000, v12
	v_med3_i32 v2, v2, 0, 13
	s_or_b32 vcc_lo, s0, vcc_lo
	v_add_nc_u32_e32 v17, 0xfffffc10, v17
	v_add_co_ci_u32_e32 v18, vcc_lo, 0, v18, vcc_lo
	v_lshrrev_b32_e32 v19, v2, v9
	v_cmp_gt_i32_e32 vcc_lo, 31, v13
	v_lshl_or_b32 v21, v17, 12, v12
	v_lshlrev_b32_e32 v20, v2, v19
	v_lshl_or_b32 v2, v5, 16, v16
	v_cndmask_b32_e32 v5, 0x7c00, v18, vcc_lo
	v_cmp_ne_u32_e32 vcc_lo, 0, v10
	v_bfe_u32 v16, v11, 20, 11
	v_cndmask_b32_e64 v10, 0, 1, vcc_lo
	v_cmp_ne_u32_e32 vcc_lo, v20, v9
	v_and_or_b32 v14, 0xffe, v14, v10
	v_cndmask_b32_e64 v9, 0, 1, vcc_lo
	v_cmp_ne_u32_e32 vcc_lo, 0, v15
	v_sub_nc_u32_e32 v10, 0x3f1, v16
	v_or_b32_e32 v18, v19, v9
	v_cndmask_b32_e64 v15, 0, 1, vcc_lo
	v_cmp_gt_i32_e32 vcc_lo, 1, v17
	v_or_b32_e32 v19, 0x1000, v14
	v_med3_i32 v20, v10, 0, 13
	v_mul_f64 v[9:10], v[0:1], s[4:5]
	v_lshl_or_b32 v15, v15, 9, 0x7c00
	v_cndmask_b32_e32 v18, v21, v18, vcc_lo
	v_mul_f16_sdwa v21, v71, v22 dst_sel:DWORD dst_unused:UNUSED_PAD src0_sel:WORD_1 src1_sel:DWORD
	v_lshrrev_b32_e32 v23, v20, v19
	v_mad_u64_u32 v[0:1], null, 0xffffd954, s8, v[7:8]
	v_and_b32_e32 v8, 7, v18
	v_cmp_eq_u32_e32 vcc_lo, 0x40f, v13
	v_lshlrev_b32_e32 v7, v20, v23
	v_fmac_f16_e32 v21, v71, v4
	v_mul_f16_sdwa v4, v71, v4 dst_sel:DWORD dst_unused:UNUSED_PAD src0_sel:WORD_1 src1_sel:DWORD
	v_cmp_eq_u32_e64 s0, 3, v8
	v_cndmask_b32_e32 v13, v5, v15, vcc_lo
	v_cmp_lt_i32_e32 vcc_lo, 5, v8
	v_add_nc_u32_e32 v8, 0xfffffc10, v16
	v_lshrrev_b32_e32 v16, 2, v18
	v_cmp_ne_u32_e64 s1, v7, v19
	v_cvt_f32_f16_e32 v5, v21
	s_or_b32 vcc_lo, s0, vcc_lo
	v_lshrrev_b32_e32 v15, 16, v6
	v_add_co_ci_u32_e32 v16, vcc_lo, 0, v16, vcc_lo
	v_cndmask_b32_e64 v7, 0, 1, s1
	v_cmp_ne_u32_e32 vcc_lo, 0, v12
	v_cvt_f64_f32_e32 v[5:6], v5
	v_and_or_b32 v9, 0x1ff, v10, v9
	v_lshl_or_b32 v18, v8, 12, v14
	v_or_b32_e32 v7, v23, v7
	v_cndmask_b32_e64 v12, 0, 1, vcc_lo
	v_cmp_gt_i32_e32 vcc_lo, 1, v8
	v_bfe_u32 v19, v10, 20, 11
	v_and_or_b32 v13, 0x8000, v15, v13
	ds_read_b32 v15, v69 offset:12600
	v_lshl_or_b32 v12, v12, 9, 0x7c00
	v_cndmask_b32_e32 v7, v18, v7, vcc_lo
	v_cmp_ne_u32_e32 vcc_lo, 0, v9
	v_lshrrev_b32_e32 v18, 8, v10
	v_and_b32_e32 v13, 0xffff, v13
	v_fma_f16 v4, v71, v22, -v4
	v_and_b32_e32 v20, 7, v7
	v_cndmask_b32_e64 v9, 0, 1, vcc_lo
	v_cmp_gt_i32_e32 vcc_lo, 31, v17
	v_lshrrev_b32_e32 v7, 2, v7
	v_add_nc_u32_e32 v1, s6, v1
	v_cmp_eq_u32_e64 s0, 3, v20
	v_and_or_b32 v9, 0xffe, v18, v9
	v_cndmask_b32_e32 v16, 0x7c00, v16, vcc_lo
	v_sub_nc_u32_e32 v18, 0x3f1, v19
	v_cmp_eq_u32_e32 vcc_lo, 0x40f, v17
	v_mul_f64 v[5:6], v[5:6], s[4:5]
	v_med3_i32 v17, v18, 0, 13
	v_cndmask_b32_e32 v12, v16, v12, vcc_lo
	v_or_b32_e32 v16, 0x1000, v9
	v_cmp_lt_i32_e32 vcc_lo, 5, v20
	v_and_or_b32 v3, 0x8000, v3, v12
	v_lshrrev_b32_e32 v12, v17, v16
	s_or_b32 vcc_lo, s0, vcc_lo
	v_add_co_ci_u32_e32 v7, vcc_lo, 0, v7, vcc_lo
	v_lshlrev_b32_e32 v17, v17, v12
	v_cmp_ne_u32_e32 vcc_lo, 0, v14
	v_lshl_or_b32 v18, v3, 16, v13
	v_cvt_f32_f16_e32 v3, v4
	v_cndmask_b32_e64 v14, 0, 1, vcc_lo
	v_cmp_ne_u32_e32 vcc_lo, v17, v16
	v_and_or_b32 v5, 0x1ff, v6, v5
	v_add_nc_u32_e32 v16, 0xfffffc10, v19
	s_waitcnt lgkmcnt(0)
	v_lshrrev_b32_e32 v17, 16, v15
	v_lshrrev_b32_e32 v19, 8, v6
	v_cndmask_b32_e64 v13, 0, 1, vcc_lo
	v_cmp_gt_i32_e32 vcc_lo, 31, v8
	v_bfe_u32 v20, v6, 20, 11
	v_cvt_f64_f32_e32 v[3:4], v3
	v_mul_f16_sdwa v21, v70, v17 dst_sel:DWORD dst_unused:UNUSED_PAD src0_sel:WORD_1 src1_sel:DWORD
	v_or_b32_e32 v12, v12, v13
	v_cndmask_b32_e32 v7, 0x7c00, v7, vcc_lo
	v_cmp_ne_u32_e32 vcc_lo, 0, v5
	v_lshl_or_b32 v13, v16, 12, v9
	v_fmac_f16_e32 v21, v70, v15
	v_mul_f16_sdwa v15, v70, v15 dst_sel:DWORD dst_unused:UNUSED_PAD src0_sel:WORD_1 src1_sel:DWORD
	v_lshrrev_b32_e32 v6, 16, v6
	v_cndmask_b32_e64 v5, 0, 1, vcc_lo
	v_cmp_gt_i32_e32 vcc_lo, 1, v16
	v_cvt_f32_f16_e32 v21, v21
	v_fma_f16 v15, v70, v17, -v15
	v_and_or_b32 v5, 0xffe, v19, v5
	v_sub_nc_u32_e32 v19, 0x3f1, v20
	v_cndmask_b32_e32 v12, v13, v12, vcc_lo
	v_lshl_or_b32 v13, v14, 9, 0x7c00
	v_cmp_eq_u32_e32 vcc_lo, 0x40f, v8
	v_or_b32_e32 v14, 0x1000, v5
	v_med3_i32 v19, v19, 0, 13
	v_and_b32_e32 v22, 7, v12
	v_mul_f64 v[3:4], v[3:4], s[4:5]
	v_cndmask_b32_e32 v23, v7, v13, vcc_lo
	v_cvt_f64_f32_e32 v[7:8], v21
	v_lshrrev_b32_e32 v13, v19, v14
	v_cmp_lt_i32_e32 vcc_lo, 5, v22
	v_cmp_eq_u32_e64 s0, 3, v22
	v_lshrrev_b32_e32 v21, 16, v11
	v_lshrrev_b32_e32 v11, 2, v12
	v_lshlrev_b32_e32 v12, v19, v13
	v_add_nc_u32_e32 v19, 0xfffffc10, v20
	s_or_b32 vcc_lo, s0, vcc_lo
	v_and_or_b32 v21, 0x8000, v21, v23
	v_add_co_ci_u32_e32 v17, vcc_lo, 0, v11, vcc_lo
	v_cmp_ne_u32_e32 vcc_lo, v12, v14
	v_cvt_f32_f16_e32 v12, v15
	v_lshl_or_b32 v20, v19, 12, v5
	v_cndmask_b32_e64 v11, 0, 1, vcc_lo
	v_cmp_ne_u32_e32 vcc_lo, 0, v9
	v_and_or_b32 v3, 0x1ff, v4, v3
	v_or_b32_e32 v15, v13, v11
	v_cndmask_b32_e64 v9, 0, 1, vcc_lo
	v_cmp_gt_i32_e32 vcc_lo, 31, v16
	v_cvt_f64_f32_e32 v[11:12], v12
	v_mul_f64 v[7:8], v[7:8], s[4:5]
	v_lshl_or_b32 v9, v9, 9, 0x7c00
	v_cndmask_b32_e32 v17, 0x7c00, v17, vcc_lo
	v_add_co_u32 v13, vcc_lo, v0, s3
	v_add_co_ci_u32_e32 v14, vcc_lo, s2, v1, vcc_lo
	v_cmp_gt_i32_e32 vcc_lo, 1, v19
	v_cndmask_b32_e32 v15, v20, v15, vcc_lo
	v_cmp_eq_u32_e32 vcc_lo, 0x40f, v16
	v_lshrrev_b32_e32 v20, 16, v10
	v_and_b32_e32 v22, 7, v15
	v_cndmask_b32_e32 v16, v17, v9, vcc_lo
	v_cmp_ne_u32_e32 vcc_lo, 0, v3
	v_lshrrev_b32_e32 v9, 8, v4
	v_bfe_u32 v17, v4, 20, 11
	v_cmp_eq_u32_e64 s0, 3, v22
	v_lshrrev_b32_e32 v15, 2, v15
	v_cndmask_b32_e64 v3, 0, 1, vcc_lo
	v_cmp_lt_i32_e32 vcc_lo, 5, v22
	v_sub_nc_u32_e32 v23, 0x3f1, v17
	v_and_or_b32 v7, 0x1ff, v8, v7
	v_lshrrev_b32_e32 v22, 8, v8
	v_and_or_b32 v3, 0xffe, v9, v3
	v_mul_f64 v[9:10], v[11:12], s[4:5]
	v_and_or_b32 v11, 0x8000, v20, v16
	v_med3_i32 v16, v23, 0, 13
	s_or_b32 vcc_lo, s0, vcc_lo
	v_or_b32_e32 v12, 0x1000, v3
	v_add_co_ci_u32_e32 v15, vcc_lo, 0, v15, vcc_lo
	v_and_b32_e32 v20, 0xffff, v21
	v_cmp_ne_u32_e32 vcc_lo, 0, v7
	v_lshrrev_b32_e32 v21, v16, v12
	v_bfe_u32 v23, v8, 20, 11
	v_lshrrev_b32_e32 v4, 16, v4
	v_lshrrev_b32_e32 v8, 16, v8
	v_cndmask_b32_e64 v7, 0, 1, vcc_lo
	v_lshlrev_b32_e32 v16, v16, v21
	v_cmp_ne_u32_e32 vcc_lo, 0, v5
	v_lshl_or_b32 v11, v11, 16, v20
	v_and_or_b32 v7, 0xffe, v22, v7
	v_sub_nc_u32_e32 v22, 0x3f1, v23
	v_cndmask_b32_e64 v5, 0, 1, vcc_lo
	v_cmp_ne_u32_e32 vcc_lo, v16, v12
	v_and_or_b32 v9, 0x1ff, v10, v9
	v_add_nc_u32_e32 v16, 0xfffffc10, v17
	v_or_b32_e32 v17, 0x1000, v7
	v_med3_i32 v22, v22, 0, 13
	v_cndmask_b32_e64 v12, 0, 1, vcc_lo
	v_cmp_gt_i32_e32 vcc_lo, 31, v19
	v_lshrrev_b32_e32 v24, 8, v10
	v_bfe_u32 v25, v10, 20, 11
	v_lshrrev_b32_e32 v26, v22, v17
	v_or_b32_e32 v12, v21, v12
	v_cndmask_b32_e32 v15, 0x7c00, v15, vcc_lo
	v_cmp_ne_u32_e32 vcc_lo, 0, v9
	v_lshl_or_b32 v21, v16, 12, v3
	v_lshl_or_b32 v5, v5, 9, 0x7c00
	v_cndmask_b32_e64 v9, 0, 1, vcc_lo
	v_cmp_gt_i32_e32 vcc_lo, 1, v16
	v_and_or_b32 v9, 0xffe, v24, v9
	v_sub_nc_u32_e32 v24, 0x3f1, v25
	v_cndmask_b32_e32 v12, v21, v12, vcc_lo
	v_lshlrev_b32_e32 v21, v22, v26
	v_cmp_eq_u32_e32 vcc_lo, 0x40f, v19
	v_or_b32_e32 v22, 0x1000, v9
	v_med3_i32 v24, v24, 0, 13
	v_and_b32_e32 v27, 7, v12
	v_lshrrev_b32_e32 v12, 2, v12
	v_cndmask_b32_e32 v5, v15, v5, vcc_lo
	v_cmp_ne_u32_e32 vcc_lo, v21, v17
	v_add_nc_u32_e32 v17, 0xfffffc10, v23
	v_lshrrev_b32_e32 v19, v24, v22
	v_cmp_eq_u32_e64 s0, 3, v27
	v_and_or_b32 v5, 0x8000, v6, v5
	v_cndmask_b32_e64 v15, 0, 1, vcc_lo
	v_lshl_or_b32 v21, v17, 12, v7
	v_lshlrev_b32_e32 v23, v24, v19
	v_cmp_gt_i32_e64 s1, 1, v17
	v_cmp_lt_i32_e32 vcc_lo, 5, v27
	v_or_b32_e32 v15, v26, v15
	v_and_b32_e32 v5, 0xffff, v5
	s_or_b32 vcc_lo, s0, vcc_lo
	v_cndmask_b32_e64 v15, v21, v15, s1
	v_cmp_ne_u32_e64 s1, v23, v22
	v_add_nc_u32_e32 v22, 0xfffffc10, v25
	v_add_co_ci_u32_e32 v12, vcc_lo, 0, v12, vcc_lo
	v_and_b32_e32 v23, 7, v15
	v_cndmask_b32_e64 v21, 0, 1, s1
	v_cmp_ne_u32_e32 vcc_lo, 0, v3
	v_cmp_gt_i32_e64 s0, 1, v22
	v_lshrrev_b32_e32 v15, 2, v15
	v_cmp_gt_i32_e64 s1, 31, v16
	v_or_b32_e32 v19, v19, v21
	v_lshl_or_b32 v21, v22, 12, v9
	v_cndmask_b32_e64 v3, 0, 1, vcc_lo
	v_cmp_lt_i32_e32 vcc_lo, 5, v23
	v_cndmask_b32_e64 v12, 0x7c00, v12, s1
	v_cmp_eq_u32_e64 s1, 0x40f, v16
	v_cndmask_b32_e64 v6, v21, v19, s0
	v_cmp_eq_u32_e64 s0, 3, v23
	v_lshl_or_b32 v3, v3, 9, 0x7c00
	v_and_b32_e32 v19, 7, v6
	s_or_b32 vcc_lo, s0, vcc_lo
	v_lshrrev_b32_e32 v6, 2, v6
	v_add_co_ci_u32_e32 v15, vcc_lo, 0, v15, vcc_lo
	v_cmp_ne_u32_e32 vcc_lo, 0, v7
	v_cmp_eq_u32_e64 s0, 3, v19
	v_cndmask_b32_e64 v3, v12, v3, s1
	v_cmp_gt_i32_e64 s1, 31, v17
	v_cndmask_b32_e64 v7, 0, 1, vcc_lo
	v_cmp_lt_i32_e32 vcc_lo, 5, v19
	v_cndmask_b32_e64 v12, 0x7c00, v15, s1
	v_lshl_or_b32 v7, v7, 9, 0x7c00
	s_or_b32 vcc_lo, s0, vcc_lo
	v_add_co_ci_u32_e32 v6, vcc_lo, 0, v6, vcc_lo
	v_cmp_ne_u32_e32 vcc_lo, 0, v9
	v_cndmask_b32_e64 v9, 0, 1, vcc_lo
	v_cmp_eq_u32_e32 vcc_lo, 0x40f, v17
	v_lshl_or_b32 v9, v9, 9, 0x7c00
	v_cndmask_b32_e32 v7, v12, v7, vcc_lo
	v_cmp_gt_i32_e32 vcc_lo, 31, v22
	v_and_or_b32 v12, 0x8000, v4, v3
	v_and_or_b32 v7, 0x8000, v8, v7
	v_cndmask_b32_e32 v6, 0x7c00, v6, vcc_lo
	v_cmp_eq_u32_e32 vcc_lo, 0x40f, v22
	v_lshrrev_b32_e32 v8, 16, v10
	v_and_b32_e32 v7, 0xffff, v7
	v_cndmask_b32_e32 v6, v6, v9, vcc_lo
	v_add_co_u32 v3, vcc_lo, v13, s3
	v_add_co_ci_u32_e32 v4, vcc_lo, s2, v14, vcc_lo
	v_lshl_or_b32 v9, v12, 16, v5
	v_and_or_b32 v8, 0x8000, v8, v6
	v_add_co_u32 v5, vcc_lo, v3, s3
	v_add_co_ci_u32_e32 v6, vcc_lo, s2, v4, vcc_lo
	v_lshl_or_b32 v10, v8, 16, v7
	v_add_co_u32 v7, vcc_lo, v5, s3
	v_add_co_ci_u32_e32 v8, vcc_lo, s2, v6, vcc_lo
	global_store_dword v[0:1], v2, off
	global_store_dword v[13:14], v18, off
	;; [unrolled: 1-line block ×5, first 2 shown]
.LBB0_2:
	s_endpgm
	.section	.rodata,"a",@progbits
	.p2align	6, 0x0
	.amdhsa_kernel bluestein_single_fwd_len3375_dim1_half_op_CI_CI
		.amdhsa_group_segment_fixed_size 13500
		.amdhsa_private_segment_fixed_size 0
		.amdhsa_kernarg_size 104
		.amdhsa_user_sgpr_count 6
		.amdhsa_user_sgpr_private_segment_buffer 1
		.amdhsa_user_sgpr_dispatch_ptr 0
		.amdhsa_user_sgpr_queue_ptr 0
		.amdhsa_user_sgpr_kernarg_segment_ptr 1
		.amdhsa_user_sgpr_dispatch_id 0
		.amdhsa_user_sgpr_flat_scratch_init 0
		.amdhsa_user_sgpr_private_segment_size 0
		.amdhsa_wavefront_size32 1
		.amdhsa_uses_dynamic_stack 0
		.amdhsa_system_sgpr_private_segment_wavefront_offset 0
		.amdhsa_system_sgpr_workgroup_id_x 1
		.amdhsa_system_sgpr_workgroup_id_y 0
		.amdhsa_system_sgpr_workgroup_id_z 0
		.amdhsa_system_sgpr_workgroup_info 0
		.amdhsa_system_vgpr_workitem_id 0
		.amdhsa_next_free_vgpr 140
		.amdhsa_next_free_sgpr 20
		.amdhsa_reserve_vcc 1
		.amdhsa_reserve_flat_scratch 0
		.amdhsa_float_round_mode_32 0
		.amdhsa_float_round_mode_16_64 0
		.amdhsa_float_denorm_mode_32 3
		.amdhsa_float_denorm_mode_16_64 3
		.amdhsa_dx10_clamp 1
		.amdhsa_ieee_mode 1
		.amdhsa_fp16_overflow 0
		.amdhsa_workgroup_processor_mode 1
		.amdhsa_memory_ordered 1
		.amdhsa_forward_progress 0
		.amdhsa_shared_vgpr_count 0
		.amdhsa_exception_fp_ieee_invalid_op 0
		.amdhsa_exception_fp_denorm_src 0
		.amdhsa_exception_fp_ieee_div_zero 0
		.amdhsa_exception_fp_ieee_overflow 0
		.amdhsa_exception_fp_ieee_underflow 0
		.amdhsa_exception_fp_ieee_inexact 0
		.amdhsa_exception_int_div_zero 0
	.end_amdhsa_kernel
	.text
.Lfunc_end0:
	.size	bluestein_single_fwd_len3375_dim1_half_op_CI_CI, .Lfunc_end0-bluestein_single_fwd_len3375_dim1_half_op_CI_CI
                                        ; -- End function
	.section	.AMDGPU.csdata,"",@progbits
; Kernel info:
; codeLenInByte = 28032
; NumSgprs: 22
; NumVgprs: 140
; ScratchSize: 0
; MemoryBound: 0
; FloatMode: 240
; IeeeMode: 1
; LDSByteSize: 13500 bytes/workgroup (compile time only)
; SGPRBlocks: 2
; VGPRBlocks: 17
; NumSGPRsForWavesPerEU: 22
; NumVGPRsForWavesPerEU: 140
; Occupancy: 7
; WaveLimiterHint : 1
; COMPUTE_PGM_RSRC2:SCRATCH_EN: 0
; COMPUTE_PGM_RSRC2:USER_SGPR: 6
; COMPUTE_PGM_RSRC2:TRAP_HANDLER: 0
; COMPUTE_PGM_RSRC2:TGID_X_EN: 1
; COMPUTE_PGM_RSRC2:TGID_Y_EN: 0
; COMPUTE_PGM_RSRC2:TGID_Z_EN: 0
; COMPUTE_PGM_RSRC2:TIDIG_COMP_CNT: 0
	.text
	.p2alignl 6, 3214868480
	.fill 48, 4, 3214868480
	.type	__hip_cuid_db982f24f002c09f,@object ; @__hip_cuid_db982f24f002c09f
	.section	.bss,"aw",@nobits
	.globl	__hip_cuid_db982f24f002c09f
__hip_cuid_db982f24f002c09f:
	.byte	0                               ; 0x0
	.size	__hip_cuid_db982f24f002c09f, 1

	.ident	"AMD clang version 19.0.0git (https://github.com/RadeonOpenCompute/llvm-project roc-6.4.0 25133 c7fe45cf4b819c5991fe208aaa96edf142730f1d)"
	.section	".note.GNU-stack","",@progbits
	.addrsig
	.addrsig_sym __hip_cuid_db982f24f002c09f
	.amdgpu_metadata
---
amdhsa.kernels:
  - .args:
      - .actual_access:  read_only
        .address_space:  global
        .offset:         0
        .size:           8
        .value_kind:     global_buffer
      - .actual_access:  read_only
        .address_space:  global
        .offset:         8
        .size:           8
        .value_kind:     global_buffer
      - .actual_access:  read_only
        .address_space:  global
        .offset:         16
        .size:           8
        .value_kind:     global_buffer
      - .actual_access:  read_only
        .address_space:  global
        .offset:         24
        .size:           8
        .value_kind:     global_buffer
      - .actual_access:  read_only
        .address_space:  global
        .offset:         32
        .size:           8
        .value_kind:     global_buffer
      - .offset:         40
        .size:           8
        .value_kind:     by_value
      - .address_space:  global
        .offset:         48
        .size:           8
        .value_kind:     global_buffer
      - .address_space:  global
        .offset:         56
        .size:           8
        .value_kind:     global_buffer
      - .address_space:  global
        .offset:         64
        .size:           8
        .value_kind:     global_buffer
      - .address_space:  global
        .offset:         72
        .size:           8
        .value_kind:     global_buffer
      - .offset:         80
        .size:           4
        .value_kind:     by_value
      - .address_space:  global
        .offset:         88
        .size:           8
        .value_kind:     global_buffer
      - .address_space:  global
        .offset:         96
        .size:           8
        .value_kind:     global_buffer
    .group_segment_fixed_size: 13500
    .kernarg_segment_align: 8
    .kernarg_segment_size: 104
    .language:       OpenCL C
    .language_version:
      - 2
      - 0
    .max_flat_workgroup_size: 225
    .name:           bluestein_single_fwd_len3375_dim1_half_op_CI_CI
    .private_segment_fixed_size: 0
    .sgpr_count:     22
    .sgpr_spill_count: 0
    .symbol:         bluestein_single_fwd_len3375_dim1_half_op_CI_CI.kd
    .uniform_work_group_size: 1
    .uses_dynamic_stack: false
    .vgpr_count:     140
    .vgpr_spill_count: 0
    .wavefront_size: 32
    .workgroup_processor_mode: 1
amdhsa.target:   amdgcn-amd-amdhsa--gfx1030
amdhsa.version:
  - 1
  - 2
...

	.end_amdgpu_metadata
